;; amdgpu-corpus repo=ROCm/AMDMIGraphX kind=compiled arch=gfx1030 opt=O3
	.text
	.amdgcn_target "amdgcn-amd-amdhsa--gfx1030"
	.amdhsa_code_object_version 6
	.p2align	2                               ; -- Begin function _ZNK8migraphx13basic_printerIZNS_4coutEvEUlT_E_ElsEPKc
	.type	_ZNK8migraphx13basic_printerIZNS_4coutEvEUlT_E_ElsEPKc,@function
_ZNK8migraphx13basic_printerIZNS_4coutEvEUlT_E_ElsEPKc: ; @_ZNK8migraphx13basic_printerIZNS_4coutEvEUlT_E_ElsEPKc
; %bb.0:
	s_waitcnt vmcnt(0) expcnt(0) lgkmcnt(0)
	s_load_dwordx2 s[6:7], s[8:9], 0x50
	v_mbcnt_lo_u32_b32 v33, -1, 0
	v_mov_b32_e32 v8, 0
	v_mov_b32_e32 v9, 0
	v_readfirstlane_b32 s4, v33
	v_cmp_eq_u32_e64 s4, s4, v33
	s_and_saveexec_b32 s5, s4
	s_cbranch_execz .LBB0_6
; %bb.1:
	v_mov_b32_e32 v2, 0
	s_mov_b32 s8, exec_lo
	s_waitcnt lgkmcnt(0)
	global_load_dwordx2 v[5:6], v2, s[6:7] offset:24 glc dlc
	s_waitcnt vmcnt(0)
	buffer_gl1_inv
	buffer_gl0_inv
	s_clause 0x1
	global_load_dwordx2 v[3:4], v2, s[6:7] offset:40
	global_load_dwordx2 v[7:8], v2, s[6:7]
	s_waitcnt vmcnt(1)
	v_and_b32_e32 v4, v4, v6
	v_and_b32_e32 v3, v3, v5
	v_mul_lo_u32 v4, v4, 24
	v_mul_hi_u32 v9, v3, 24
	v_mul_lo_u32 v3, v3, 24
	v_add_nc_u32_e32 v4, v9, v4
	s_waitcnt vmcnt(0)
	v_add_co_u32 v3, vcc_lo, v7, v3
	v_add_co_ci_u32_e32 v4, vcc_lo, v8, v4, vcc_lo
	global_load_dwordx2 v[3:4], v[3:4], off glc dlc
	s_waitcnt vmcnt(0)
	global_atomic_cmpswap_x2 v[8:9], v2, v[3:6], s[6:7] offset:24 glc
	s_waitcnt vmcnt(0)
	buffer_gl1_inv
	buffer_gl0_inv
	v_cmpx_ne_u64_e64 v[8:9], v[5:6]
	s_cbranch_execz .LBB0_5
; %bb.2:
	s_mov_b32 s9, 0
	.p2align	6
.LBB0_3:                                ; =>This Inner Loop Header: Depth=1
	s_sleep 1
	s_clause 0x1
	global_load_dwordx2 v[3:4], v2, s[6:7] offset:40
	global_load_dwordx2 v[10:11], v2, s[6:7]
	v_mov_b32_e32 v5, v8
	v_mov_b32_e32 v6, v9
	s_waitcnt vmcnt(1)
	v_and_b32_e32 v3, v3, v5
	v_and_b32_e32 v4, v4, v6
	s_waitcnt vmcnt(0)
	v_mad_u64_u32 v[7:8], null, v3, 24, v[10:11]
	v_mov_b32_e32 v3, v8
	v_mad_u64_u32 v[3:4], null, v4, 24, v[3:4]
	v_mov_b32_e32 v8, v3
	global_load_dwordx2 v[3:4], v[7:8], off glc dlc
	s_waitcnt vmcnt(0)
	global_atomic_cmpswap_x2 v[8:9], v2, v[3:6], s[6:7] offset:24 glc
	s_waitcnt vmcnt(0)
	buffer_gl1_inv
	buffer_gl0_inv
	v_cmp_eq_u64_e32 vcc_lo, v[8:9], v[5:6]
	s_or_b32 s9, vcc_lo, s9
	s_andn2_b32 exec_lo, exec_lo, s9
	s_cbranch_execnz .LBB0_3
; %bb.4:
	s_or_b32 exec_lo, exec_lo, s9
.LBB0_5:
	s_or_b32 exec_lo, exec_lo, s8
.LBB0_6:
	s_or_b32 exec_lo, exec_lo, s5
	v_mov_b32_e32 v7, 0
	v_readfirstlane_b32 s8, v8
	v_readfirstlane_b32 s9, v9
	s_mov_b32 s5, exec_lo
	s_waitcnt lgkmcnt(0)
	s_clause 0x1
	global_load_dwordx2 v[10:11], v7, s[6:7] offset:40
	global_load_dwordx4 v[2:5], v7, s[6:7]
	s_waitcnt vmcnt(1)
	v_readfirstlane_b32 s10, v10
	v_readfirstlane_b32 s11, v11
	s_and_b64 s[10:11], s[8:9], s[10:11]
	s_mul_i32 s12, s11, 24
	s_mul_hi_u32 s13, s10, 24
	s_mul_i32 s14, s10, 24
	s_add_i32 s13, s13, s12
	s_waitcnt vmcnt(0)
	v_add_co_u32 v10, vcc_lo, v2, s14
	v_add_co_ci_u32_e32 v11, vcc_lo, s13, v3, vcc_lo
	s_and_saveexec_b32 s12, s4
	s_cbranch_execz .LBB0_8
; %bb.7:
	v_mov_b32_e32 v6, s5
	v_mov_b32_e32 v8, 2
	;; [unrolled: 1-line block ×3, first 2 shown]
	global_store_dwordx4 v[10:11], v[6:9], off offset:8
.LBB0_8:
	s_or_b32 exec_lo, exec_lo, s12
	s_lshl_b64 s[10:11], s[10:11], 12
	v_lshlrev_b32_e32 v32, 6, v33
	v_add_co_u32 v4, vcc_lo, v4, s10
	v_add_co_ci_u32_e32 v5, vcc_lo, s11, v5, vcc_lo
	s_mov_b32 s12, 0
	v_add_co_u32 v12, vcc_lo, v4, v32
	s_mov_b32 s15, s12
	s_mov_b32 s13, s12
	;; [unrolled: 1-line block ×3, first 2 shown]
	v_mov_b32_e32 v6, 33
	v_mov_b32_e32 v8, v7
	;; [unrolled: 1-line block ×3, first 2 shown]
	v_readfirstlane_b32 s10, v4
	v_readfirstlane_b32 s11, v5
	v_mov_b32_e32 v17, s15
	v_add_co_ci_u32_e32 v13, vcc_lo, 0, v5, vcc_lo
	v_mov_b32_e32 v16, s14
	v_mov_b32_e32 v15, s13
	;; [unrolled: 1-line block ×3, first 2 shown]
	global_store_dwordx4 v32, v[6:9], s[10:11]
	global_store_dwordx4 v32, v[14:17], s[10:11] offset:16
	global_store_dwordx4 v32, v[14:17], s[10:11] offset:32
	;; [unrolled: 1-line block ×3, first 2 shown]
	s_and_saveexec_b32 s5, s4
	s_cbranch_execz .LBB0_16
; %bb.9:
	v_mov_b32_e32 v8, 0
	v_mov_b32_e32 v14, s8
	;; [unrolled: 1-line block ×3, first 2 shown]
	s_mov_b32 s10, exec_lo
	s_clause 0x1
	global_load_dwordx2 v[16:17], v8, s[6:7] offset:32 glc dlc
	global_load_dwordx2 v[4:5], v8, s[6:7] offset:40
	s_waitcnt vmcnt(0)
	v_and_b32_e32 v5, s9, v5
	v_and_b32_e32 v4, s8, v4
	v_mul_lo_u32 v5, v5, 24
	v_mul_hi_u32 v6, v4, 24
	v_mul_lo_u32 v4, v4, 24
	v_add_nc_u32_e32 v5, v6, v5
	v_add_co_u32 v6, vcc_lo, v2, v4
	v_add_co_ci_u32_e32 v7, vcc_lo, v3, v5, vcc_lo
	global_store_dwordx2 v[6:7], v[16:17], off
	s_waitcnt_vscnt null, 0x0
	global_atomic_cmpswap_x2 v[4:5], v8, v[14:17], s[6:7] offset:32 glc
	s_waitcnt vmcnt(0)
	v_cmpx_ne_u64_e64 v[4:5], v[16:17]
	s_cbranch_execz .LBB0_12
; %bb.10:
	s_mov_b32 s11, 0
.LBB0_11:                               ; =>This Inner Loop Header: Depth=1
	v_mov_b32_e32 v2, s8
	v_mov_b32_e32 v3, s9
	s_sleep 1
	global_store_dwordx2 v[6:7], v[4:5], off
	s_waitcnt_vscnt null, 0x0
	global_atomic_cmpswap_x2 v[2:3], v8, v[2:5], s[6:7] offset:32 glc
	s_waitcnt vmcnt(0)
	v_cmp_eq_u64_e32 vcc_lo, v[2:3], v[4:5]
	v_mov_b32_e32 v5, v3
	v_mov_b32_e32 v4, v2
	s_or_b32 s11, vcc_lo, s11
	s_andn2_b32 exec_lo, exec_lo, s11
	s_cbranch_execnz .LBB0_11
.LBB0_12:
	s_or_b32 exec_lo, exec_lo, s10
	v_mov_b32_e32 v5, 0
	s_mov_b32 s11, exec_lo
	s_mov_b32 s10, exec_lo
	v_mbcnt_lo_u32_b32 v4, s11, 0
	global_load_dwordx2 v[2:3], v5, s[6:7] offset:16
	v_cmpx_eq_u32_e32 0, v4
	s_cbranch_execz .LBB0_14
; %bb.13:
	s_bcnt1_i32_b32 s11, s11
	v_mov_b32_e32 v4, s11
	s_waitcnt vmcnt(0)
	global_atomic_add_x2 v[2:3], v[4:5], off offset:8
.LBB0_14:
	s_or_b32 exec_lo, exec_lo, s10
	s_waitcnt vmcnt(0)
	global_load_dwordx2 v[4:5], v[2:3], off offset:16
	s_waitcnt vmcnt(0)
	v_cmp_eq_u64_e32 vcc_lo, 0, v[4:5]
	s_cbranch_vccnz .LBB0_16
; %bb.15:
	global_load_dword v2, v[2:3], off offset:24
	v_mov_b32_e32 v3, 0
	s_waitcnt vmcnt(0)
	v_and_b32_e32 v6, 0x7fffff, v2
	s_waitcnt_vscnt null, 0x0
	global_store_dwordx2 v[4:5], v[2:3], off
	v_readfirstlane_b32 m0, v6
	s_sendmsg sendmsg(MSG_INTERRUPT)
.LBB0_16:
	s_or_b32 exec_lo, exec_lo, s5
	s_branch .LBB0_20
	.p2align	6
.LBB0_17:                               ;   in Loop: Header=BB0_20 Depth=1
	s_or_b32 exec_lo, exec_lo, s5
	v_readfirstlane_b32 s5, v2
	s_cmp_eq_u32 s5, 0
	s_cbranch_scc1 .LBB0_19
; %bb.18:                               ;   in Loop: Header=BB0_20 Depth=1
	s_sleep 1
	s_cbranch_execnz .LBB0_20
	s_branch .LBB0_22
	.p2align	6
.LBB0_19:
	s_branch .LBB0_22
.LBB0_20:                               ; =>This Inner Loop Header: Depth=1
	v_mov_b32_e32 v2, 1
	s_and_saveexec_b32 s5, s4
	s_cbranch_execz .LBB0_17
; %bb.21:                               ;   in Loop: Header=BB0_20 Depth=1
	global_load_dword v2, v[10:11], off offset:20 glc dlc
	s_waitcnt vmcnt(0)
	buffer_gl1_inv
	buffer_gl0_inv
	v_and_b32_e32 v2, 1, v2
	s_branch .LBB0_17
.LBB0_22:
	global_load_dwordx2 v[6:7], v[12:13], off
	s_and_saveexec_b32 s5, s4
	s_cbranch_execz .LBB0_26
; %bb.23:
	v_mov_b32_e32 v10, 0
	s_clause 0x2
	global_load_dwordx2 v[4:5], v10, s[6:7] offset:40
	global_load_dwordx2 v[11:12], v10, s[6:7] offset:24 glc dlc
	global_load_dwordx2 v[8:9], v10, s[6:7]
	s_waitcnt vmcnt(2)
	v_add_co_u32 v13, vcc_lo, v4, 1
	v_add_co_ci_u32_e32 v14, vcc_lo, 0, v5, vcc_lo
	v_add_co_u32 v2, vcc_lo, v13, s8
	v_add_co_ci_u32_e32 v3, vcc_lo, s9, v14, vcc_lo
	v_cmp_eq_u64_e32 vcc_lo, 0, v[2:3]
	v_cndmask_b32_e32 v3, v3, v14, vcc_lo
	v_cndmask_b32_e32 v2, v2, v13, vcc_lo
	v_and_b32_e32 v5, v3, v5
	v_and_b32_e32 v4, v2, v4
	v_mul_lo_u32 v5, v5, 24
	v_mul_hi_u32 v13, v4, 24
	v_mul_lo_u32 v4, v4, 24
	v_add_nc_u32_e32 v5, v13, v5
	s_waitcnt vmcnt(0)
	v_add_co_u32 v8, vcc_lo, v8, v4
	v_mov_b32_e32 v4, v11
	v_add_co_ci_u32_e32 v9, vcc_lo, v9, v5, vcc_lo
	v_mov_b32_e32 v5, v12
	global_store_dwordx2 v[8:9], v[11:12], off
	s_waitcnt_vscnt null, 0x0
	global_atomic_cmpswap_x2 v[4:5], v10, v[2:5], s[6:7] offset:24 glc
	s_waitcnt vmcnt(0)
	v_cmp_ne_u64_e32 vcc_lo, v[4:5], v[11:12]
	s_and_b32 exec_lo, exec_lo, vcc_lo
	s_cbranch_execz .LBB0_26
; %bb.24:
	s_mov_b32 s4, 0
.LBB0_25:                               ; =>This Inner Loop Header: Depth=1
	s_sleep 1
	global_store_dwordx2 v[8:9], v[4:5], off
	s_waitcnt_vscnt null, 0x0
	global_atomic_cmpswap_x2 v[11:12], v10, v[2:5], s[6:7] offset:24 glc
	s_waitcnt vmcnt(0)
	v_cmp_eq_u64_e32 vcc_lo, v[11:12], v[4:5]
	v_mov_b32_e32 v4, v11
	v_mov_b32_e32 v5, v12
	s_or_b32 s4, vcc_lo, s4
	s_andn2_b32 exec_lo, exec_lo, s4
	s_cbranch_execnz .LBB0_25
.LBB0_26:
	s_or_b32 exec_lo, exec_lo, s5
	s_getpc_b64 s[8:9]
	s_add_u32 s8, s8, .str.5@rel32@lo+4
	s_addc_u32 s9, s9, .str.5@rel32@hi+12
	s_cmp_lg_u64 s[8:9], 0
	s_cbranch_scc0 .LBB0_105
; %bb.27:
	s_waitcnt vmcnt(0)
	v_and_b32_e32 v30, 2, v6
	v_mov_b32_e32 v9, 0
	v_and_b32_e32 v2, -3, v6
	v_mov_b32_e32 v3, v7
	v_mov_b32_e32 v10, 2
	;; [unrolled: 1-line block ×3, first 2 shown]
	s_mov_b64 s[10:11], 3
	s_branch .LBB0_29
.LBB0_28:                               ;   in Loop: Header=BB0_29 Depth=1
	s_or_b32 exec_lo, exec_lo, s5
	s_sub_u32 s10, s10, s12
	s_subb_u32 s11, s11, s13
	s_add_u32 s8, s8, s12
	s_addc_u32 s9, s9, s13
	s_cmp_lg_u64 s[10:11], 0
	s_cbranch_scc0 .LBB0_104
.LBB0_29:                               ; =>This Loop Header: Depth=1
                                        ;     Child Loop BB0_38 Depth 2
                                        ;     Child Loop BB0_34 Depth 2
	;; [unrolled: 1-line block ×11, first 2 shown]
	v_cmp_lt_u64_e64 s4, s[10:11], 56
	v_cmp_gt_u64_e64 s5, s[10:11], 7
                                        ; implicit-def: $vgpr4_vgpr5
                                        ; implicit-def: $sgpr18
	s_and_b32 s4, s4, exec_lo
	s_cselect_b32 s13, s11, 0
	s_cselect_b32 s12, s10, 56
	s_and_b32 vcc_lo, exec_lo, s5
	s_mov_b32 s4, -1
	s_cbranch_vccz .LBB0_36
; %bb.30:                               ;   in Loop: Header=BB0_29 Depth=1
	s_andn2_b32 vcc_lo, exec_lo, s4
	s_mov_b64 s[4:5], s[8:9]
	s_cbranch_vccz .LBB0_40
.LBB0_31:                               ;   in Loop: Header=BB0_29 Depth=1
	s_cmp_gt_u32 s18, 7
	s_cbranch_scc1 .LBB0_41
.LBB0_32:                               ;   in Loop: Header=BB0_29 Depth=1
	v_mov_b32_e32 v12, 0
	v_mov_b32_e32 v13, 0
	s_cmp_eq_u32 s18, 0
	s_cbranch_scc1 .LBB0_35
; %bb.33:                               ;   in Loop: Header=BB0_29 Depth=1
	s_mov_b64 s[14:15], 0
	s_mov_b64 s[16:17], 0
.LBB0_34:                               ;   Parent Loop BB0_29 Depth=1
                                        ; =>  This Inner Loop Header: Depth=2
	s_add_u32 s20, s4, s16
	s_addc_u32 s21, s5, s17
	s_add_u32 s16, s16, 1
	global_load_ubyte v8, v9, s[20:21]
	s_addc_u32 s17, s17, 0
	s_waitcnt vmcnt(0)
	v_and_b32_e32 v8, 0xffff, v8
	v_lshlrev_b64 v[14:15], s14, v[8:9]
	s_add_u32 s14, s14, 8
	s_addc_u32 s15, s15, 0
	s_cmp_lg_u32 s18, s16
	v_or_b32_e32 v12, v14, v12
	v_or_b32_e32 v13, v15, v13
	s_cbranch_scc1 .LBB0_34
.LBB0_35:                               ;   in Loop: Header=BB0_29 Depth=1
	s_mov_b32 s19, 0
	s_cbranch_execz .LBB0_42
	s_branch .LBB0_43
.LBB0_36:                               ;   in Loop: Header=BB0_29 Depth=1
	s_waitcnt vmcnt(0)
	v_mov_b32_e32 v4, 0
	v_mov_b32_e32 v5, 0
	s_cmp_eq_u64 s[10:11], 0
	s_mov_b64 s[4:5], 0
	s_cbranch_scc1 .LBB0_39
; %bb.37:                               ;   in Loop: Header=BB0_29 Depth=1
	v_mov_b32_e32 v4, 0
	v_mov_b32_e32 v5, 0
	s_lshl_b64 s[14:15], s[12:13], 3
	s_mov_b64 s[16:17], s[8:9]
.LBB0_38:                               ;   Parent Loop BB0_29 Depth=1
                                        ; =>  This Inner Loop Header: Depth=2
	global_load_ubyte v8, v9, s[16:17]
	s_waitcnt vmcnt(0)
	v_and_b32_e32 v8, 0xffff, v8
	v_lshlrev_b64 v[12:13], s4, v[8:9]
	s_add_u32 s4, s4, 8
	s_addc_u32 s5, s5, 0
	s_add_u32 s16, s16, 1
	s_addc_u32 s17, s17, 0
	s_cmp_lg_u32 s14, s4
	v_or_b32_e32 v4, v12, v4
	v_or_b32_e32 v5, v13, v5
	s_cbranch_scc1 .LBB0_38
.LBB0_39:                               ;   in Loop: Header=BB0_29 Depth=1
	s_mov_b32 s18, 0
	s_mov_b64 s[4:5], s[8:9]
	s_cbranch_execnz .LBB0_31
.LBB0_40:                               ;   in Loop: Header=BB0_29 Depth=1
	global_load_dwordx2 v[4:5], v9, s[8:9]
	s_add_i32 s18, s12, -8
	s_add_u32 s4, s8, 8
	s_addc_u32 s5, s9, 0
	s_cmp_gt_u32 s18, 7
	s_cbranch_scc0 .LBB0_32
.LBB0_41:                               ;   in Loop: Header=BB0_29 Depth=1
                                        ; implicit-def: $vgpr12_vgpr13
                                        ; implicit-def: $sgpr19
.LBB0_42:                               ;   in Loop: Header=BB0_29 Depth=1
	global_load_dwordx2 v[12:13], v9, s[4:5]
	s_add_i32 s19, s18, -8
	s_add_u32 s4, s4, 8
	s_addc_u32 s5, s5, 0
.LBB0_43:                               ;   in Loop: Header=BB0_29 Depth=1
	s_cmp_gt_u32 s19, 7
	s_cbranch_scc1 .LBB0_48
; %bb.44:                               ;   in Loop: Header=BB0_29 Depth=1
	v_mov_b32_e32 v14, 0
	v_mov_b32_e32 v15, 0
	s_cmp_eq_u32 s19, 0
	s_cbranch_scc1 .LBB0_47
; %bb.45:                               ;   in Loop: Header=BB0_29 Depth=1
	s_mov_b64 s[14:15], 0
	s_mov_b64 s[16:17], 0
.LBB0_46:                               ;   Parent Loop BB0_29 Depth=1
                                        ; =>  This Inner Loop Header: Depth=2
	s_add_u32 s20, s4, s16
	s_addc_u32 s21, s5, s17
	s_add_u32 s16, s16, 1
	global_load_ubyte v8, v9, s[20:21]
	s_addc_u32 s17, s17, 0
	s_waitcnt vmcnt(0)
	v_and_b32_e32 v8, 0xffff, v8
	v_lshlrev_b64 v[16:17], s14, v[8:9]
	s_add_u32 s14, s14, 8
	s_addc_u32 s15, s15, 0
	s_cmp_lg_u32 s19, s16
	v_or_b32_e32 v14, v16, v14
	v_or_b32_e32 v15, v17, v15
	s_cbranch_scc1 .LBB0_46
.LBB0_47:                               ;   in Loop: Header=BB0_29 Depth=1
	s_mov_b32 s18, 0
	s_cbranch_execz .LBB0_49
	s_branch .LBB0_50
.LBB0_48:                               ;   in Loop: Header=BB0_29 Depth=1
                                        ; implicit-def: $sgpr18
.LBB0_49:                               ;   in Loop: Header=BB0_29 Depth=1
	global_load_dwordx2 v[14:15], v9, s[4:5]
	s_add_i32 s18, s19, -8
	s_add_u32 s4, s4, 8
	s_addc_u32 s5, s5, 0
.LBB0_50:                               ;   in Loop: Header=BB0_29 Depth=1
	s_cmp_gt_u32 s18, 7
	s_cbranch_scc1 .LBB0_55
; %bb.51:                               ;   in Loop: Header=BB0_29 Depth=1
	v_mov_b32_e32 v16, 0
	v_mov_b32_e32 v17, 0
	s_cmp_eq_u32 s18, 0
	s_cbranch_scc1 .LBB0_54
; %bb.52:                               ;   in Loop: Header=BB0_29 Depth=1
	s_mov_b64 s[14:15], 0
	s_mov_b64 s[16:17], 0
.LBB0_53:                               ;   Parent Loop BB0_29 Depth=1
                                        ; =>  This Inner Loop Header: Depth=2
	s_add_u32 s20, s4, s16
	s_addc_u32 s21, s5, s17
	s_add_u32 s16, s16, 1
	global_load_ubyte v8, v9, s[20:21]
	s_addc_u32 s17, s17, 0
	s_waitcnt vmcnt(0)
	v_and_b32_e32 v8, 0xffff, v8
	v_lshlrev_b64 v[18:19], s14, v[8:9]
	s_add_u32 s14, s14, 8
	s_addc_u32 s15, s15, 0
	s_cmp_lg_u32 s18, s16
	v_or_b32_e32 v16, v18, v16
	v_or_b32_e32 v17, v19, v17
	s_cbranch_scc1 .LBB0_53
.LBB0_54:                               ;   in Loop: Header=BB0_29 Depth=1
	s_mov_b32 s19, 0
	s_cbranch_execz .LBB0_56
	s_branch .LBB0_57
.LBB0_55:                               ;   in Loop: Header=BB0_29 Depth=1
                                        ; implicit-def: $vgpr16_vgpr17
                                        ; implicit-def: $sgpr19
.LBB0_56:                               ;   in Loop: Header=BB0_29 Depth=1
	global_load_dwordx2 v[16:17], v9, s[4:5]
	s_add_i32 s19, s18, -8
	s_add_u32 s4, s4, 8
	s_addc_u32 s5, s5, 0
.LBB0_57:                               ;   in Loop: Header=BB0_29 Depth=1
	s_cmp_gt_u32 s19, 7
	s_cbranch_scc1 .LBB0_62
; %bb.58:                               ;   in Loop: Header=BB0_29 Depth=1
	v_mov_b32_e32 v18, 0
	v_mov_b32_e32 v19, 0
	s_cmp_eq_u32 s19, 0
	s_cbranch_scc1 .LBB0_61
; %bb.59:                               ;   in Loop: Header=BB0_29 Depth=1
	s_mov_b64 s[14:15], 0
	s_mov_b64 s[16:17], 0
.LBB0_60:                               ;   Parent Loop BB0_29 Depth=1
                                        ; =>  This Inner Loop Header: Depth=2
	s_add_u32 s20, s4, s16
	s_addc_u32 s21, s5, s17
	s_add_u32 s16, s16, 1
	global_load_ubyte v8, v9, s[20:21]
	s_addc_u32 s17, s17, 0
	s_waitcnt vmcnt(0)
	v_and_b32_e32 v8, 0xffff, v8
	v_lshlrev_b64 v[20:21], s14, v[8:9]
	s_add_u32 s14, s14, 8
	s_addc_u32 s15, s15, 0
	s_cmp_lg_u32 s19, s16
	v_or_b32_e32 v18, v20, v18
	v_or_b32_e32 v19, v21, v19
	s_cbranch_scc1 .LBB0_60
.LBB0_61:                               ;   in Loop: Header=BB0_29 Depth=1
	s_mov_b32 s18, 0
	s_cbranch_execz .LBB0_63
	s_branch .LBB0_64
.LBB0_62:                               ;   in Loop: Header=BB0_29 Depth=1
                                        ; implicit-def: $sgpr18
.LBB0_63:                               ;   in Loop: Header=BB0_29 Depth=1
	global_load_dwordx2 v[18:19], v9, s[4:5]
	s_add_i32 s18, s19, -8
	s_add_u32 s4, s4, 8
	s_addc_u32 s5, s5, 0
.LBB0_64:                               ;   in Loop: Header=BB0_29 Depth=1
	s_cmp_gt_u32 s18, 7
	s_cbranch_scc1 .LBB0_69
; %bb.65:                               ;   in Loop: Header=BB0_29 Depth=1
	v_mov_b32_e32 v20, 0
	v_mov_b32_e32 v21, 0
	s_cmp_eq_u32 s18, 0
	s_cbranch_scc1 .LBB0_68
; %bb.66:                               ;   in Loop: Header=BB0_29 Depth=1
	s_mov_b64 s[14:15], 0
	s_mov_b64 s[16:17], 0
.LBB0_67:                               ;   Parent Loop BB0_29 Depth=1
                                        ; =>  This Inner Loop Header: Depth=2
	s_add_u32 s20, s4, s16
	s_addc_u32 s21, s5, s17
	s_add_u32 s16, s16, 1
	global_load_ubyte v8, v9, s[20:21]
	s_addc_u32 s17, s17, 0
	s_waitcnt vmcnt(0)
	v_and_b32_e32 v8, 0xffff, v8
	v_lshlrev_b64 v[22:23], s14, v[8:9]
	s_add_u32 s14, s14, 8
	s_addc_u32 s15, s15, 0
	s_cmp_lg_u32 s18, s16
	v_or_b32_e32 v20, v22, v20
	v_or_b32_e32 v21, v23, v21
	s_cbranch_scc1 .LBB0_67
.LBB0_68:                               ;   in Loop: Header=BB0_29 Depth=1
	s_mov_b32 s19, 0
	s_cbranch_execz .LBB0_70
	s_branch .LBB0_71
.LBB0_69:                               ;   in Loop: Header=BB0_29 Depth=1
                                        ; implicit-def: $vgpr20_vgpr21
                                        ; implicit-def: $sgpr19
.LBB0_70:                               ;   in Loop: Header=BB0_29 Depth=1
	global_load_dwordx2 v[20:21], v9, s[4:5]
	s_add_i32 s19, s18, -8
	s_add_u32 s4, s4, 8
	s_addc_u32 s5, s5, 0
.LBB0_71:                               ;   in Loop: Header=BB0_29 Depth=1
	s_cmp_gt_u32 s19, 7
	s_cbranch_scc1 .LBB0_76
; %bb.72:                               ;   in Loop: Header=BB0_29 Depth=1
	v_mov_b32_e32 v22, 0
	v_mov_b32_e32 v23, 0
	s_cmp_eq_u32 s19, 0
	s_cbranch_scc1 .LBB0_75
; %bb.73:                               ;   in Loop: Header=BB0_29 Depth=1
	s_mov_b64 s[14:15], 0
	s_mov_b64 s[16:17], s[4:5]
.LBB0_74:                               ;   Parent Loop BB0_29 Depth=1
                                        ; =>  This Inner Loop Header: Depth=2
	global_load_ubyte v8, v9, s[16:17]
	s_add_i32 s19, s19, -1
	s_waitcnt vmcnt(0)
	v_and_b32_e32 v8, 0xffff, v8
	v_lshlrev_b64 v[24:25], s14, v[8:9]
	s_add_u32 s14, s14, 8
	s_addc_u32 s15, s15, 0
	s_add_u32 s16, s16, 1
	s_addc_u32 s17, s17, 0
	s_cmp_lg_u32 s19, 0
	v_or_b32_e32 v22, v24, v22
	v_or_b32_e32 v23, v25, v23
	s_cbranch_scc1 .LBB0_74
.LBB0_75:                               ;   in Loop: Header=BB0_29 Depth=1
	s_cbranch_execz .LBB0_77
	s_branch .LBB0_78
.LBB0_76:                               ;   in Loop: Header=BB0_29 Depth=1
.LBB0_77:                               ;   in Loop: Header=BB0_29 Depth=1
	global_load_dwordx2 v[22:23], v9, s[4:5]
.LBB0_78:                               ;   in Loop: Header=BB0_29 Depth=1
	v_readfirstlane_b32 s4, v33
	v_mov_b32_e32 v28, 0
	v_mov_b32_e32 v29, 0
	v_cmp_eq_u32_e64 s4, s4, v33
	s_and_saveexec_b32 s5, s4
	s_cbranch_execz .LBB0_84
; %bb.79:                               ;   in Loop: Header=BB0_29 Depth=1
	global_load_dwordx2 v[26:27], v9, s[6:7] offset:24 glc dlc
	s_waitcnt vmcnt(0)
	buffer_gl1_inv
	buffer_gl0_inv
	s_clause 0x1
	global_load_dwordx2 v[24:25], v9, s[6:7] offset:40
	global_load_dwordx2 v[28:29], v9, s[6:7]
	s_mov_b32 s14, exec_lo
	s_waitcnt vmcnt(1)
	v_and_b32_e32 v8, v25, v27
	v_and_b32_e32 v24, v24, v26
	v_mul_lo_u32 v8, v8, 24
	v_mul_hi_u32 v25, v24, 24
	v_mul_lo_u32 v24, v24, 24
	v_add_nc_u32_e32 v8, v25, v8
	s_waitcnt vmcnt(0)
	v_add_co_u32 v24, vcc_lo, v28, v24
	v_add_co_ci_u32_e32 v25, vcc_lo, v29, v8, vcc_lo
	global_load_dwordx2 v[24:25], v[24:25], off glc dlc
	s_waitcnt vmcnt(0)
	global_atomic_cmpswap_x2 v[28:29], v9, v[24:27], s[6:7] offset:24 glc
	s_waitcnt vmcnt(0)
	buffer_gl1_inv
	buffer_gl0_inv
	v_cmpx_ne_u64_e64 v[28:29], v[26:27]
	s_cbranch_execz .LBB0_83
; %bb.80:                               ;   in Loop: Header=BB0_29 Depth=1
	s_mov_b32 s15, 0
	.p2align	6
.LBB0_81:                               ;   Parent Loop BB0_29 Depth=1
                                        ; =>  This Inner Loop Header: Depth=2
	s_sleep 1
	s_clause 0x1
	global_load_dwordx2 v[24:25], v9, s[6:7] offset:40
	global_load_dwordx2 v[34:35], v9, s[6:7]
	v_mov_b32_e32 v26, v28
	v_mov_b32_e32 v27, v29
	s_waitcnt vmcnt(1)
	v_and_b32_e32 v8, v24, v26
	v_and_b32_e32 v24, v25, v27
	s_waitcnt vmcnt(0)
	v_mad_u64_u32 v[28:29], null, v8, 24, v[34:35]
	v_mov_b32_e32 v8, v29
	v_mad_u64_u32 v[24:25], null, v24, 24, v[8:9]
	v_mov_b32_e32 v29, v24
	global_load_dwordx2 v[24:25], v[28:29], off glc dlc
	s_waitcnt vmcnt(0)
	global_atomic_cmpswap_x2 v[28:29], v9, v[24:27], s[6:7] offset:24 glc
	s_waitcnt vmcnt(0)
	buffer_gl1_inv
	buffer_gl0_inv
	v_cmp_eq_u64_e32 vcc_lo, v[28:29], v[26:27]
	s_or_b32 s15, vcc_lo, s15
	s_andn2_b32 exec_lo, exec_lo, s15
	s_cbranch_execnz .LBB0_81
; %bb.82:                               ;   in Loop: Header=BB0_29 Depth=1
	s_or_b32 exec_lo, exec_lo, s15
.LBB0_83:                               ;   in Loop: Header=BB0_29 Depth=1
	s_or_b32 exec_lo, exec_lo, s14
.LBB0_84:                               ;   in Loop: Header=BB0_29 Depth=1
	s_or_b32 exec_lo, exec_lo, s5
	s_clause 0x1
	global_load_dwordx2 v[34:35], v9, s[6:7] offset:40
	global_load_dwordx4 v[24:27], v9, s[6:7]
	v_readfirstlane_b32 s14, v28
	v_readfirstlane_b32 s15, v29
	s_mov_b32 s5, exec_lo
	s_waitcnt vmcnt(1)
	v_readfirstlane_b32 s16, v34
	v_readfirstlane_b32 s17, v35
	s_and_b64 s[16:17], s[14:15], s[16:17]
	s_mul_i32 s18, s17, 24
	s_mul_hi_u32 s19, s16, 24
	s_mul_i32 s20, s16, 24
	s_add_i32 s19, s19, s18
	s_waitcnt vmcnt(0)
	v_add_co_u32 v28, vcc_lo, v24, s20
	v_add_co_ci_u32_e32 v29, vcc_lo, s19, v25, vcc_lo
	s_and_saveexec_b32 s18, s4
	s_cbranch_execz .LBB0_86
; %bb.85:                               ;   in Loop: Header=BB0_29 Depth=1
	v_mov_b32_e32 v8, s5
	global_store_dwordx4 v[28:29], v[8:11], off offset:8
.LBB0_86:                               ;   in Loop: Header=BB0_29 Depth=1
	s_or_b32 exec_lo, exec_lo, s18
	s_lshl_b64 s[16:17], s[16:17], 12
	v_cmp_gt_u64_e64 vcc_lo, s[10:11], 56
	v_or_b32_e32 v31, v2, v30
	v_add_co_u32 v26, s5, v26, s16
	v_add_co_ci_u32_e64 v27, s5, s17, v27, s5
	s_lshl_b32 s5, s12, 2
	v_or_b32_e32 v8, 0, v3
	v_cndmask_b32_e32 v2, v31, v2, vcc_lo
	s_add_i32 s5, s5, 28
	v_readfirstlane_b32 s16, v26
	s_and_b32 s5, s5, 0x1e0
	v_cndmask_b32_e32 v3, v8, v3, vcc_lo
	v_readfirstlane_b32 s17, v27
	v_and_or_b32 v2, 0xffffff1f, v2, s5
	global_store_dwordx4 v32, v[2:5], s[16:17]
	global_store_dwordx4 v32, v[12:15], s[16:17] offset:16
	global_store_dwordx4 v32, v[16:19], s[16:17] offset:32
	;; [unrolled: 1-line block ×3, first 2 shown]
	s_and_saveexec_b32 s5, s4
	s_cbranch_execz .LBB0_94
; %bb.87:                               ;   in Loop: Header=BB0_29 Depth=1
	s_clause 0x1
	global_load_dwordx2 v[16:17], v9, s[6:7] offset:32 glc dlc
	global_load_dwordx2 v[2:3], v9, s[6:7] offset:40
	v_mov_b32_e32 v14, s14
	v_mov_b32_e32 v15, s15
	s_waitcnt vmcnt(0)
	v_readfirstlane_b32 s16, v2
	v_readfirstlane_b32 s17, v3
	s_and_b64 s[16:17], s[16:17], s[14:15]
	s_mul_i32 s17, s17, 24
	s_mul_hi_u32 s18, s16, 24
	s_mul_i32 s16, s16, 24
	s_add_i32 s18, s18, s17
	v_add_co_u32 v12, vcc_lo, v24, s16
	v_add_co_ci_u32_e32 v13, vcc_lo, s18, v25, vcc_lo
	s_mov_b32 s16, exec_lo
	global_store_dwordx2 v[12:13], v[16:17], off
	s_waitcnt_vscnt null, 0x0
	global_atomic_cmpswap_x2 v[4:5], v9, v[14:17], s[6:7] offset:32 glc
	s_waitcnt vmcnt(0)
	v_cmpx_ne_u64_e64 v[4:5], v[16:17]
	s_cbranch_execz .LBB0_90
; %bb.88:                               ;   in Loop: Header=BB0_29 Depth=1
	s_mov_b32 s17, 0
.LBB0_89:                               ;   Parent Loop BB0_29 Depth=1
                                        ; =>  This Inner Loop Header: Depth=2
	v_mov_b32_e32 v2, s14
	v_mov_b32_e32 v3, s15
	s_sleep 1
	global_store_dwordx2 v[12:13], v[4:5], off
	s_waitcnt_vscnt null, 0x0
	global_atomic_cmpswap_x2 v[2:3], v9, v[2:5], s[6:7] offset:32 glc
	s_waitcnt vmcnt(0)
	v_cmp_eq_u64_e32 vcc_lo, v[2:3], v[4:5]
	v_mov_b32_e32 v5, v3
	v_mov_b32_e32 v4, v2
	s_or_b32 s17, vcc_lo, s17
	s_andn2_b32 exec_lo, exec_lo, s17
	s_cbranch_execnz .LBB0_89
.LBB0_90:                               ;   in Loop: Header=BB0_29 Depth=1
	s_or_b32 exec_lo, exec_lo, s16
	global_load_dwordx2 v[2:3], v9, s[6:7] offset:16
	s_mov_b32 s17, exec_lo
	s_mov_b32 s16, exec_lo
	v_mbcnt_lo_u32_b32 v4, s17, 0
	v_cmpx_eq_u32_e32 0, v4
	s_cbranch_execz .LBB0_92
; %bb.91:                               ;   in Loop: Header=BB0_29 Depth=1
	s_bcnt1_i32_b32 s17, s17
	v_mov_b32_e32 v8, s17
	s_waitcnt vmcnt(0)
	global_atomic_add_x2 v[2:3], v[8:9], off offset:8
.LBB0_92:                               ;   in Loop: Header=BB0_29 Depth=1
	s_or_b32 exec_lo, exec_lo, s16
	s_waitcnt vmcnt(0)
	global_load_dwordx2 v[4:5], v[2:3], off offset:16
	s_waitcnt vmcnt(0)
	v_cmp_eq_u64_e32 vcc_lo, 0, v[4:5]
	s_cbranch_vccnz .LBB0_94
; %bb.93:                               ;   in Loop: Header=BB0_29 Depth=1
	global_load_dword v8, v[2:3], off offset:24
	s_waitcnt vmcnt(0)
	v_and_b32_e32 v2, 0x7fffff, v8
	s_waitcnt_vscnt null, 0x0
	global_store_dwordx2 v[4:5], v[8:9], off
	v_readfirstlane_b32 m0, v2
	s_sendmsg sendmsg(MSG_INTERRUPT)
.LBB0_94:                               ;   in Loop: Header=BB0_29 Depth=1
	s_or_b32 exec_lo, exec_lo, s5
	v_add_co_u32 v2, vcc_lo, v26, v32
	v_add_co_ci_u32_e32 v3, vcc_lo, 0, v27, vcc_lo
	s_branch .LBB0_98
	.p2align	6
.LBB0_95:                               ;   in Loop: Header=BB0_98 Depth=2
	s_or_b32 exec_lo, exec_lo, s5
	v_readfirstlane_b32 s5, v4
	s_cmp_eq_u32 s5, 0
	s_cbranch_scc1 .LBB0_97
; %bb.96:                               ;   in Loop: Header=BB0_98 Depth=2
	s_sleep 1
	s_cbranch_execnz .LBB0_98
	s_branch .LBB0_100
	.p2align	6
.LBB0_97:                               ;   in Loop: Header=BB0_29 Depth=1
	s_branch .LBB0_100
.LBB0_98:                               ;   Parent Loop BB0_29 Depth=1
                                        ; =>  This Inner Loop Header: Depth=2
	v_mov_b32_e32 v4, 1
	s_and_saveexec_b32 s5, s4
	s_cbranch_execz .LBB0_95
; %bb.99:                               ;   in Loop: Header=BB0_98 Depth=2
	global_load_dword v4, v[28:29], off offset:20 glc dlc
	s_waitcnt vmcnt(0)
	buffer_gl1_inv
	buffer_gl0_inv
	v_and_b32_e32 v4, 1, v4
	s_branch .LBB0_95
.LBB0_100:                              ;   in Loop: Header=BB0_29 Depth=1
	global_load_dwordx4 v[2:5], v[2:3], off
	s_and_saveexec_b32 s5, s4
	s_cbranch_execz .LBB0_28
; %bb.101:                              ;   in Loop: Header=BB0_29 Depth=1
	s_clause 0x2
	global_load_dwordx2 v[4:5], v9, s[6:7] offset:40
	global_load_dwordx2 v[16:17], v9, s[6:7] offset:24 glc dlc
	global_load_dwordx2 v[14:15], v9, s[6:7]
	s_waitcnt vmcnt(2)
	v_add_co_u32 v8, vcc_lo, v4, 1
	v_add_co_ci_u32_e32 v18, vcc_lo, 0, v5, vcc_lo
	v_add_co_u32 v12, vcc_lo, v8, s14
	v_add_co_ci_u32_e32 v13, vcc_lo, s15, v18, vcc_lo
	v_cmp_eq_u64_e32 vcc_lo, 0, v[12:13]
	v_cndmask_b32_e32 v13, v13, v18, vcc_lo
	v_cndmask_b32_e32 v12, v12, v8, vcc_lo
	v_and_b32_e32 v5, v13, v5
	v_and_b32_e32 v4, v12, v4
	v_mul_lo_u32 v5, v5, 24
	v_mul_hi_u32 v8, v4, 24
	v_mul_lo_u32 v4, v4, 24
	v_add_nc_u32_e32 v5, v8, v5
	s_waitcnt vmcnt(0)
	v_add_co_u32 v4, vcc_lo, v14, v4
	v_mov_b32_e32 v14, v16
	v_add_co_ci_u32_e32 v5, vcc_lo, v15, v5, vcc_lo
	v_mov_b32_e32 v15, v17
	global_store_dwordx2 v[4:5], v[16:17], off
	s_waitcnt_vscnt null, 0x0
	global_atomic_cmpswap_x2 v[14:15], v9, v[12:15], s[6:7] offset:24 glc
	s_waitcnt vmcnt(0)
	v_cmp_ne_u64_e32 vcc_lo, v[14:15], v[16:17]
	s_and_b32 exec_lo, exec_lo, vcc_lo
	s_cbranch_execz .LBB0_28
; %bb.102:                              ;   in Loop: Header=BB0_29 Depth=1
	s_mov_b32 s4, 0
.LBB0_103:                              ;   Parent Loop BB0_29 Depth=1
                                        ; =>  This Inner Loop Header: Depth=2
	s_sleep 1
	global_store_dwordx2 v[4:5], v[14:15], off
	s_waitcnt_vscnt null, 0x0
	global_atomic_cmpswap_x2 v[16:17], v9, v[12:15], s[6:7] offset:24 glc
	s_waitcnt vmcnt(0)
	v_cmp_eq_u64_e32 vcc_lo, v[16:17], v[14:15]
	v_mov_b32_e32 v14, v16
	v_mov_b32_e32 v15, v17
	s_or_b32 s4, vcc_lo, s4
	s_andn2_b32 exec_lo, exec_lo, s4
	s_cbranch_execnz .LBB0_103
	s_branch .LBB0_28
.LBB0_104:
	s_branch .LBB0_133
.LBB0_105:
                                        ; implicit-def: $vgpr2_vgpr3
	s_cbranch_execz .LBB0_133
; %bb.106:
	v_readfirstlane_b32 s4, v33
	v_mov_b32_e32 v9, 0
	v_mov_b32_e32 v10, 0
	v_cmp_eq_u32_e64 s4, s4, v33
	s_and_saveexec_b32 s5, s4
	s_cbranch_execz .LBB0_112
; %bb.107:
	s_waitcnt vmcnt(0)
	v_mov_b32_e32 v2, 0
	s_mov_b32 s8, exec_lo
	global_load_dwordx2 v[11:12], v2, s[6:7] offset:24 glc dlc
	s_waitcnt vmcnt(0)
	buffer_gl1_inv
	buffer_gl0_inv
	s_clause 0x1
	global_load_dwordx2 v[3:4], v2, s[6:7] offset:40
	global_load_dwordx2 v[8:9], v2, s[6:7]
	s_waitcnt vmcnt(1)
	v_and_b32_e32 v4, v4, v12
	v_and_b32_e32 v3, v3, v11
	v_mul_lo_u32 v4, v4, 24
	v_mul_hi_u32 v5, v3, 24
	v_mul_lo_u32 v3, v3, 24
	v_add_nc_u32_e32 v4, v5, v4
	s_waitcnt vmcnt(0)
	v_add_co_u32 v3, vcc_lo, v8, v3
	v_add_co_ci_u32_e32 v4, vcc_lo, v9, v4, vcc_lo
	global_load_dwordx2 v[9:10], v[3:4], off glc dlc
	s_waitcnt vmcnt(0)
	global_atomic_cmpswap_x2 v[9:10], v2, v[9:12], s[6:7] offset:24 glc
	s_waitcnt vmcnt(0)
	buffer_gl1_inv
	buffer_gl0_inv
	v_cmpx_ne_u64_e64 v[9:10], v[11:12]
	s_cbranch_execz .LBB0_111
; %bb.108:
	s_mov_b32 s9, 0
	.p2align	6
.LBB0_109:                              ; =>This Inner Loop Header: Depth=1
	s_sleep 1
	s_clause 0x1
	global_load_dwordx2 v[3:4], v2, s[6:7] offset:40
	global_load_dwordx2 v[13:14], v2, s[6:7]
	v_mov_b32_e32 v12, v10
	v_mov_b32_e32 v11, v9
	s_waitcnt vmcnt(1)
	v_and_b32_e32 v3, v3, v11
	v_and_b32_e32 v4, v4, v12
	s_waitcnt vmcnt(0)
	v_mad_u64_u32 v[8:9], null, v3, 24, v[13:14]
	v_mov_b32_e32 v3, v9
	v_mad_u64_u32 v[3:4], null, v4, 24, v[3:4]
	v_mov_b32_e32 v9, v3
	global_load_dwordx2 v[9:10], v[8:9], off glc dlc
	s_waitcnt vmcnt(0)
	global_atomic_cmpswap_x2 v[9:10], v2, v[9:12], s[6:7] offset:24 glc
	s_waitcnt vmcnt(0)
	buffer_gl1_inv
	buffer_gl0_inv
	v_cmp_eq_u64_e32 vcc_lo, v[9:10], v[11:12]
	s_or_b32 s9, vcc_lo, s9
	s_andn2_b32 exec_lo, exec_lo, s9
	s_cbranch_execnz .LBB0_109
; %bb.110:
	s_or_b32 exec_lo, exec_lo, s9
.LBB0_111:
	s_or_b32 exec_lo, exec_lo, s8
.LBB0_112:
	s_or_b32 exec_lo, exec_lo, s5
	v_mov_b32_e32 v8, 0
	v_readfirstlane_b32 s8, v9
	v_readfirstlane_b32 s9, v10
	s_mov_b32 s5, exec_lo
	s_clause 0x1
	global_load_dwordx2 v[11:12], v8, s[6:7] offset:40
	global_load_dwordx4 v[2:5], v8, s[6:7]
	s_waitcnt vmcnt(1)
	v_readfirstlane_b32 s10, v11
	v_readfirstlane_b32 s11, v12
	s_and_b64 s[10:11], s[8:9], s[10:11]
	s_mul_i32 s12, s11, 24
	s_mul_hi_u32 s13, s10, 24
	s_mul_i32 s14, s10, 24
	s_add_i32 s13, s13, s12
	s_waitcnt vmcnt(0)
	v_add_co_u32 v10, vcc_lo, v2, s14
	v_add_co_ci_u32_e32 v11, vcc_lo, s13, v3, vcc_lo
	s_and_saveexec_b32 s12, s4
	s_cbranch_execz .LBB0_114
; %bb.113:
	v_mov_b32_e32 v12, s5
	v_mov_b32_e32 v13, v8
	;; [unrolled: 1-line block ×4, first 2 shown]
	global_store_dwordx4 v[10:11], v[12:15], off offset:8
.LBB0_114:
	s_or_b32 exec_lo, exec_lo, s12
	s_lshl_b64 s[10:11], s[10:11], 12
	s_mov_b32 s12, 0
	v_add_co_u32 v4, vcc_lo, v4, s10
	v_add_co_ci_u32_e32 v5, vcc_lo, s11, v5, vcc_lo
	s_mov_b32 s15, s12
	v_add_co_u32 v12, vcc_lo, v4, v32
	s_mov_b32 s13, s12
	s_mov_b32 s14, s12
	v_and_or_b32 v6, 0xffffff1f, v6, 32
	v_mov_b32_e32 v9, v8
	v_readfirstlane_b32 s10, v4
	v_readfirstlane_b32 s11, v5
	v_mov_b32_e32 v17, s15
	v_add_co_ci_u32_e32 v13, vcc_lo, 0, v5, vcc_lo
	v_mov_b32_e32 v16, s14
	v_mov_b32_e32 v15, s13
	;; [unrolled: 1-line block ×3, first 2 shown]
	global_store_dwordx4 v32, v[6:9], s[10:11]
	global_store_dwordx4 v32, v[14:17], s[10:11] offset:16
	global_store_dwordx4 v32, v[14:17], s[10:11] offset:32
	;; [unrolled: 1-line block ×3, first 2 shown]
	s_and_saveexec_b32 s5, s4
	s_cbranch_execz .LBB0_122
; %bb.115:
	v_mov_b32_e32 v8, 0
	v_mov_b32_e32 v14, s8
	;; [unrolled: 1-line block ×3, first 2 shown]
	s_clause 0x1
	global_load_dwordx2 v[16:17], v8, s[6:7] offset:32 glc dlc
	global_load_dwordx2 v[4:5], v8, s[6:7] offset:40
	s_waitcnt vmcnt(0)
	v_readfirstlane_b32 s10, v4
	v_readfirstlane_b32 s11, v5
	s_and_b64 s[10:11], s[10:11], s[8:9]
	s_mul_i32 s11, s11, 24
	s_mul_hi_u32 s12, s10, 24
	s_mul_i32 s10, s10, 24
	s_add_i32 s12, s12, s11
	v_add_co_u32 v6, vcc_lo, v2, s10
	v_add_co_ci_u32_e32 v7, vcc_lo, s12, v3, vcc_lo
	s_mov_b32 s10, exec_lo
	global_store_dwordx2 v[6:7], v[16:17], off
	s_waitcnt_vscnt null, 0x0
	global_atomic_cmpswap_x2 v[4:5], v8, v[14:17], s[6:7] offset:32 glc
	s_waitcnt vmcnt(0)
	v_cmpx_ne_u64_e64 v[4:5], v[16:17]
	s_cbranch_execz .LBB0_118
; %bb.116:
	s_mov_b32 s11, 0
.LBB0_117:                              ; =>This Inner Loop Header: Depth=1
	v_mov_b32_e32 v2, s8
	v_mov_b32_e32 v3, s9
	s_sleep 1
	global_store_dwordx2 v[6:7], v[4:5], off
	s_waitcnt_vscnt null, 0x0
	global_atomic_cmpswap_x2 v[2:3], v8, v[2:5], s[6:7] offset:32 glc
	s_waitcnt vmcnt(0)
	v_cmp_eq_u64_e32 vcc_lo, v[2:3], v[4:5]
	v_mov_b32_e32 v5, v3
	v_mov_b32_e32 v4, v2
	s_or_b32 s11, vcc_lo, s11
	s_andn2_b32 exec_lo, exec_lo, s11
	s_cbranch_execnz .LBB0_117
.LBB0_118:
	s_or_b32 exec_lo, exec_lo, s10
	v_mov_b32_e32 v5, 0
	s_mov_b32 s11, exec_lo
	s_mov_b32 s10, exec_lo
	v_mbcnt_lo_u32_b32 v4, s11, 0
	global_load_dwordx2 v[2:3], v5, s[6:7] offset:16
	v_cmpx_eq_u32_e32 0, v4
	s_cbranch_execz .LBB0_120
; %bb.119:
	s_bcnt1_i32_b32 s11, s11
	v_mov_b32_e32 v4, s11
	s_waitcnt vmcnt(0)
	global_atomic_add_x2 v[2:3], v[4:5], off offset:8
.LBB0_120:
	s_or_b32 exec_lo, exec_lo, s10
	s_waitcnt vmcnt(0)
	global_load_dwordx2 v[4:5], v[2:3], off offset:16
	s_waitcnt vmcnt(0)
	v_cmp_eq_u64_e32 vcc_lo, 0, v[4:5]
	s_cbranch_vccnz .LBB0_122
; %bb.121:
	global_load_dword v2, v[2:3], off offset:24
	v_mov_b32_e32 v3, 0
	s_waitcnt vmcnt(0)
	v_and_b32_e32 v6, 0x7fffff, v2
	s_waitcnt_vscnt null, 0x0
	global_store_dwordx2 v[4:5], v[2:3], off
	v_readfirstlane_b32 m0, v6
	s_sendmsg sendmsg(MSG_INTERRUPT)
.LBB0_122:
	s_or_b32 exec_lo, exec_lo, s5
	s_branch .LBB0_126
	.p2align	6
.LBB0_123:                              ;   in Loop: Header=BB0_126 Depth=1
	s_or_b32 exec_lo, exec_lo, s5
	v_readfirstlane_b32 s5, v2
	s_cmp_eq_u32 s5, 0
	s_cbranch_scc1 .LBB0_125
; %bb.124:                              ;   in Loop: Header=BB0_126 Depth=1
	s_sleep 1
	s_cbranch_execnz .LBB0_126
	s_branch .LBB0_128
	.p2align	6
.LBB0_125:
	s_branch .LBB0_128
.LBB0_126:                              ; =>This Inner Loop Header: Depth=1
	v_mov_b32_e32 v2, 1
	s_and_saveexec_b32 s5, s4
	s_cbranch_execz .LBB0_123
; %bb.127:                              ;   in Loop: Header=BB0_126 Depth=1
	global_load_dword v2, v[10:11], off offset:20 glc dlc
	s_waitcnt vmcnt(0)
	buffer_gl1_inv
	buffer_gl0_inv
	v_and_b32_e32 v2, 1, v2
	s_branch .LBB0_123
.LBB0_128:
	global_load_dwordx2 v[2:3], v[12:13], off
	s_and_saveexec_b32 s5, s4
	s_cbranch_execz .LBB0_132
; %bb.129:
	v_mov_b32_e32 v10, 0
	s_clause 0x2
	global_load_dwordx2 v[6:7], v10, s[6:7] offset:40
	global_load_dwordx2 v[11:12], v10, s[6:7] offset:24 glc dlc
	global_load_dwordx2 v[8:9], v10, s[6:7]
	s_waitcnt vmcnt(2)
	v_add_co_u32 v13, vcc_lo, v6, 1
	v_add_co_ci_u32_e32 v14, vcc_lo, 0, v7, vcc_lo
	v_add_co_u32 v4, vcc_lo, v13, s8
	v_add_co_ci_u32_e32 v5, vcc_lo, s9, v14, vcc_lo
	v_cmp_eq_u64_e32 vcc_lo, 0, v[4:5]
	v_cndmask_b32_e32 v5, v5, v14, vcc_lo
	v_cndmask_b32_e32 v4, v4, v13, vcc_lo
	v_and_b32_e32 v7, v5, v7
	v_and_b32_e32 v6, v4, v6
	v_mul_lo_u32 v7, v7, 24
	v_mul_hi_u32 v13, v6, 24
	v_mul_lo_u32 v6, v6, 24
	v_add_nc_u32_e32 v7, v13, v7
	s_waitcnt vmcnt(0)
	v_add_co_u32 v8, vcc_lo, v8, v6
	v_mov_b32_e32 v6, v11
	v_add_co_ci_u32_e32 v9, vcc_lo, v9, v7, vcc_lo
	v_mov_b32_e32 v7, v12
	global_store_dwordx2 v[8:9], v[11:12], off
	s_waitcnt_vscnt null, 0x0
	global_atomic_cmpswap_x2 v[6:7], v10, v[4:7], s[6:7] offset:24 glc
	s_waitcnt vmcnt(0)
	v_cmp_ne_u64_e32 vcc_lo, v[6:7], v[11:12]
	s_and_b32 exec_lo, exec_lo, vcc_lo
	s_cbranch_execz .LBB0_132
; %bb.130:
	s_mov_b32 s4, 0
.LBB0_131:                              ; =>This Inner Loop Header: Depth=1
	s_sleep 1
	global_store_dwordx2 v[8:9], v[6:7], off
	s_waitcnt_vscnt null, 0x0
	global_atomic_cmpswap_x2 v[11:12], v10, v[4:7], s[6:7] offset:24 glc
	s_waitcnt vmcnt(0)
	v_cmp_eq_u64_e32 vcc_lo, v[11:12], v[6:7]
	v_mov_b32_e32 v6, v11
	v_mov_b32_e32 v7, v12
	s_or_b32 s4, vcc_lo, s4
	s_andn2_b32 exec_lo, exec_lo, s4
	s_cbranch_execnz .LBB0_131
.LBB0_132:
	s_or_b32 exec_lo, exec_lo, s5
.LBB0_133:
	v_cmp_ne_u64_e32 vcc_lo, 0, v[0:1]
	v_mov_b32_e32 v26, 0
	v_mov_b32_e32 v27, 0
	s_and_saveexec_b32 s5, vcc_lo
	s_cbranch_execnz .LBB0_158
; %bb.134:
	s_or_b32 exec_lo, exec_lo, s5
	s_and_saveexec_b32 s4, vcc_lo
	s_xor_b32 s12, exec_lo, s4
	s_cbranch_execnz .LBB0_161
.LBB0_135:
	s_andn2_saveexec_b32 s5, s12
	s_cbranch_execz .LBB0_251
.LBB0_136:
	v_readfirstlane_b32 s4, v33
	v_mov_b32_e32 v0, 0
	v_mov_b32_e32 v1, 0
	v_cmp_eq_u32_e64 s4, s4, v33
	s_and_saveexec_b32 s8, s4
	s_cbranch_execz .LBB0_142
; %bb.137:
	s_waitcnt vmcnt(0)
	v_mov_b32_e32 v4, 0
	s_mov_b32 s9, exec_lo
	global_load_dwordx2 v[7:8], v4, s[6:7] offset:24 glc dlc
	s_waitcnt vmcnt(0)
	buffer_gl1_inv
	buffer_gl0_inv
	s_clause 0x1
	global_load_dwordx2 v[0:1], v4, s[6:7] offset:40
	global_load_dwordx2 v[5:6], v4, s[6:7]
	s_waitcnt vmcnt(1)
	v_and_b32_e32 v1, v1, v8
	v_and_b32_e32 v0, v0, v7
	v_mul_lo_u32 v1, v1, 24
	v_mul_hi_u32 v9, v0, 24
	v_mul_lo_u32 v0, v0, 24
	v_add_nc_u32_e32 v1, v9, v1
	s_waitcnt vmcnt(0)
	v_add_co_u32 v0, vcc_lo, v5, v0
	v_add_co_ci_u32_e32 v1, vcc_lo, v6, v1, vcc_lo
	global_load_dwordx2 v[5:6], v[0:1], off glc dlc
	s_waitcnt vmcnt(0)
	global_atomic_cmpswap_x2 v[0:1], v4, v[5:8], s[6:7] offset:24 glc
	s_waitcnt vmcnt(0)
	buffer_gl1_inv
	buffer_gl0_inv
	v_cmpx_ne_u64_e64 v[0:1], v[7:8]
	s_cbranch_execz .LBB0_141
; %bb.138:
	s_mov_b32 s10, 0
	.p2align	6
.LBB0_139:                              ; =>This Inner Loop Header: Depth=1
	s_sleep 1
	s_clause 0x1
	global_load_dwordx2 v[5:6], v4, s[6:7] offset:40
	global_load_dwordx2 v[9:10], v4, s[6:7]
	v_mov_b32_e32 v8, v1
	v_mov_b32_e32 v7, v0
	s_waitcnt vmcnt(1)
	v_and_b32_e32 v0, v5, v7
	v_and_b32_e32 v5, v6, v8
	s_waitcnt vmcnt(0)
	v_mad_u64_u32 v[0:1], null, v0, 24, v[9:10]
	v_mad_u64_u32 v[5:6], null, v5, 24, v[1:2]
	v_mov_b32_e32 v1, v5
	global_load_dwordx2 v[5:6], v[0:1], off glc dlc
	s_waitcnt vmcnt(0)
	global_atomic_cmpswap_x2 v[0:1], v4, v[5:8], s[6:7] offset:24 glc
	s_waitcnt vmcnt(0)
	buffer_gl1_inv
	buffer_gl0_inv
	v_cmp_eq_u64_e32 vcc_lo, v[0:1], v[7:8]
	s_or_b32 s10, vcc_lo, s10
	s_andn2_b32 exec_lo, exec_lo, s10
	s_cbranch_execnz .LBB0_139
; %bb.140:
	s_or_b32 exec_lo, exec_lo, s10
.LBB0_141:
	s_or_b32 exec_lo, exec_lo, s9
.LBB0_142:
	s_or_b32 exec_lo, exec_lo, s8
	s_waitcnt vmcnt(0)
	v_mov_b32_e32 v4, 0
	v_readfirstlane_b32 s8, v0
	v_readfirstlane_b32 s9, v1
	s_mov_b32 s12, exec_lo
	s_clause 0x1
	global_load_dwordx2 v[10:11], v4, s[6:7] offset:40
	global_load_dwordx4 v[6:9], v4, s[6:7]
	s_waitcnt vmcnt(1)
	v_readfirstlane_b32 s10, v10
	v_readfirstlane_b32 s11, v11
	s_and_b64 s[10:11], s[8:9], s[10:11]
	s_mul_i32 s13, s11, 24
	s_mul_hi_u32 s14, s10, 24
	s_mul_i32 s15, s10, 24
	s_add_i32 s14, s14, s13
	s_waitcnt vmcnt(0)
	v_add_co_u32 v10, vcc_lo, v6, s15
	v_add_co_ci_u32_e32 v11, vcc_lo, s14, v7, vcc_lo
	s_and_saveexec_b32 s13, s4
	s_cbranch_execz .LBB0_144
; %bb.143:
	v_mov_b32_e32 v12, s12
	v_mov_b32_e32 v13, v4
	;; [unrolled: 1-line block ×4, first 2 shown]
	global_store_dwordx4 v[10:11], v[12:15], off offset:8
.LBB0_144:
	s_or_b32 exec_lo, exec_lo, s13
	s_lshl_b64 s[10:11], s[10:11], 12
	s_mov_b32 s12, 0
	v_add_co_u32 v0, vcc_lo, v8, s10
	v_add_co_ci_u32_e32 v1, vcc_lo, s11, v9, vcc_lo
	s_mov_b32 s13, s12
	s_mov_b32 s14, s12
	;; [unrolled: 1-line block ×3, first 2 shown]
	v_and_or_b32 v2, 0xffffff1d, v2, 34
	v_mov_b32_e32 v5, v4
	v_readfirstlane_b32 s10, v0
	v_readfirstlane_b32 s11, v1
	v_mov_b32_e32 v12, s12
	v_mov_b32_e32 v13, s13
	v_mov_b32_e32 v14, s14
	v_mov_b32_e32 v15, s15
	global_store_dwordx4 v32, v[2:5], s[10:11]
	global_store_dwordx4 v32, v[12:15], s[10:11] offset:16
	global_store_dwordx4 v32, v[12:15], s[10:11] offset:32
	;; [unrolled: 1-line block ×3, first 2 shown]
	s_and_saveexec_b32 s10, s4
	s_cbranch_execz .LBB0_152
; %bb.145:
	v_mov_b32_e32 v8, 0
	v_mov_b32_e32 v12, s8
	;; [unrolled: 1-line block ×3, first 2 shown]
	s_clause 0x1
	global_load_dwordx2 v[14:15], v8, s[6:7] offset:32 glc dlc
	global_load_dwordx2 v[0:1], v8, s[6:7] offset:40
	s_waitcnt vmcnt(0)
	v_readfirstlane_b32 s12, v0
	v_readfirstlane_b32 s13, v1
	s_and_b64 s[12:13], s[12:13], s[8:9]
	s_mul_i32 s11, s13, 24
	s_mul_hi_u32 s13, s12, 24
	s_mul_i32 s12, s12, 24
	s_add_i32 s13, s13, s11
	v_add_co_u32 v4, vcc_lo, v6, s12
	v_add_co_ci_u32_e32 v5, vcc_lo, s13, v7, vcc_lo
	s_mov_b32 s11, exec_lo
	global_store_dwordx2 v[4:5], v[14:15], off
	s_waitcnt_vscnt null, 0x0
	global_atomic_cmpswap_x2 v[2:3], v8, v[12:15], s[6:7] offset:32 glc
	s_waitcnt vmcnt(0)
	v_cmpx_ne_u64_e64 v[2:3], v[14:15]
	s_cbranch_execz .LBB0_148
; %bb.146:
	s_mov_b32 s12, 0
.LBB0_147:                              ; =>This Inner Loop Header: Depth=1
	v_mov_b32_e32 v0, s8
	v_mov_b32_e32 v1, s9
	s_sleep 1
	global_store_dwordx2 v[4:5], v[2:3], off
	s_waitcnt_vscnt null, 0x0
	global_atomic_cmpswap_x2 v[0:1], v8, v[0:3], s[6:7] offset:32 glc
	s_waitcnt vmcnt(0)
	v_cmp_eq_u64_e32 vcc_lo, v[0:1], v[2:3]
	v_mov_b32_e32 v3, v1
	v_mov_b32_e32 v2, v0
	s_or_b32 s12, vcc_lo, s12
	s_andn2_b32 exec_lo, exec_lo, s12
	s_cbranch_execnz .LBB0_147
.LBB0_148:
	s_or_b32 exec_lo, exec_lo, s11
	v_mov_b32_e32 v3, 0
	s_mov_b32 s12, exec_lo
	s_mov_b32 s11, exec_lo
	v_mbcnt_lo_u32_b32 v2, s12, 0
	global_load_dwordx2 v[0:1], v3, s[6:7] offset:16
	v_cmpx_eq_u32_e32 0, v2
	s_cbranch_execz .LBB0_150
; %bb.149:
	s_bcnt1_i32_b32 s12, s12
	v_mov_b32_e32 v2, s12
	s_waitcnt vmcnt(0)
	global_atomic_add_x2 v[0:1], v[2:3], off offset:8
.LBB0_150:
	s_or_b32 exec_lo, exec_lo, s11
	s_waitcnt vmcnt(0)
	global_load_dwordx2 v[2:3], v[0:1], off offset:16
	s_waitcnt vmcnt(0)
	v_cmp_eq_u64_e32 vcc_lo, 0, v[2:3]
	s_cbranch_vccnz .LBB0_152
; %bb.151:
	global_load_dword v0, v[0:1], off offset:24
	v_mov_b32_e32 v1, 0
	s_waitcnt vmcnt(0)
	v_and_b32_e32 v4, 0x7fffff, v0
	s_waitcnt_vscnt null, 0x0
	global_store_dwordx2 v[2:3], v[0:1], off
	v_readfirstlane_b32 m0, v4
	s_sendmsg sendmsg(MSG_INTERRUPT)
.LBB0_152:
	s_or_b32 exec_lo, exec_lo, s10
	s_branch .LBB0_156
	.p2align	6
.LBB0_153:                              ;   in Loop: Header=BB0_156 Depth=1
	s_or_b32 exec_lo, exec_lo, s10
	v_readfirstlane_b32 s10, v0
	s_cmp_eq_u32 s10, 0
	s_cbranch_scc1 .LBB0_155
; %bb.154:                              ;   in Loop: Header=BB0_156 Depth=1
	s_sleep 1
	s_cbranch_execnz .LBB0_156
	s_branch .LBB0_245
	.p2align	6
.LBB0_155:
	s_branch .LBB0_245
.LBB0_156:                              ; =>This Inner Loop Header: Depth=1
	v_mov_b32_e32 v0, 1
	s_and_saveexec_b32 s10, s4
	s_cbranch_execz .LBB0_153
; %bb.157:                              ;   in Loop: Header=BB0_156 Depth=1
	global_load_dword v0, v[10:11], off offset:20 glc dlc
	s_waitcnt vmcnt(0)
	buffer_gl1_inv
	buffer_gl0_inv
	v_and_b32_e32 v0, 1, v0
	s_branch .LBB0_153
.LBB0_158:
	s_waitcnt vmcnt(0)
	v_add_co_u32 v4, s4, v0, -1
	v_add_co_ci_u32_e64 v5, s4, -1, v1, s4
	s_mov_b32 s8, 0
.LBB0_159:                              ; =>This Inner Loop Header: Depth=1
	flat_load_ubyte v8, v[4:5] offset:1
	v_add_co_u32 v6, s4, v4, 1
	v_add_co_ci_u32_e64 v7, s4, 0, v5, s4
	v_mov_b32_e32 v4, v6
	v_mov_b32_e32 v5, v7
	s_waitcnt vmcnt(0) lgkmcnt(0)
	v_cmp_eq_u16_e64 s4, 0, v8
	s_or_b32 s8, s4, s8
	s_andn2_b32 exec_lo, exec_lo, s8
	s_cbranch_execnz .LBB0_159
; %bb.160:
	s_or_b32 exec_lo, exec_lo, s8
	v_sub_co_u32 v4, s4, v6, v0
	v_sub_co_ci_u32_e64 v5, s4, v7, v1, s4
	v_add_co_u32 v26, s4, v4, 1
	v_add_co_ci_u32_e64 v27, s4, 0, v5, s4
	s_or_b32 exec_lo, exec_lo, s5
	s_and_saveexec_b32 s4, vcc_lo
	s_xor_b32 s12, exec_lo, s4
	s_cbranch_execz .LBB0_135
.LBB0_161:
	s_waitcnt vmcnt(0)
	v_and_b32_e32 v2, -3, v2
	v_mov_b32_e32 v7, 0
	v_mov_b32_e32 v8, 2
	;; [unrolled: 1-line block ×3, first 2 shown]
	s_mov_b32 s14, 0
	s_mov_b32 s13, 0
	s_branch .LBB0_163
.LBB0_162:                              ;   in Loop: Header=BB0_163 Depth=1
	s_or_b32 exec_lo, exec_lo, s5
	v_sub_co_u32 v26, vcc_lo, v26, v28
	v_sub_co_ci_u32_e32 v27, vcc_lo, v27, v29, vcc_lo
	v_add_co_u32 v0, s4, v0, v28
	v_add_co_ci_u32_e64 v1, s4, v1, v29, s4
	v_cmp_eq_u64_e32 vcc_lo, 0, v[26:27]
	s_or_b32 s13, vcc_lo, s13
	s_andn2_b32 exec_lo, exec_lo, s13
	s_cbranch_execz .LBB0_250
.LBB0_163:                              ; =>This Loop Header: Depth=1
                                        ;     Child Loop BB0_166 Depth 2
                                        ;     Child Loop BB0_174 Depth 2
	;; [unrolled: 1-line block ×11, first 2 shown]
	v_cmp_gt_u64_e32 vcc_lo, 56, v[26:27]
	s_mov_b32 s5, exec_lo
                                        ; implicit-def: $sgpr8
	v_cndmask_b32_e32 v29, 0, v27, vcc_lo
	v_cndmask_b32_e32 v28, 56, v26, vcc_lo
	v_cmpx_gt_u64_e32 8, v[26:27]
	s_xor_b32 s5, exec_lo, s5
	s_cbranch_execz .LBB0_169
; %bb.164:                              ;   in Loop: Header=BB0_163 Depth=1
	s_waitcnt vmcnt(0)
	v_mov_b32_e32 v4, 0
	v_mov_b32_e32 v5, 0
	s_mov_b64 s[8:9], 0
	s_mov_b32 s10, exec_lo
	v_cmpx_ne_u64_e32 0, v[26:27]
	s_cbranch_execz .LBB0_168
; %bb.165:                              ;   in Loop: Header=BB0_163 Depth=1
	v_lshlrev_b64 v[10:11], 3, v[28:29]
	v_mov_b32_e32 v4, 0
	v_mov_b32_e32 v12, v1
	;; [unrolled: 1-line block ×4, first 2 shown]
	s_mov_b32 s11, 0
	.p2align	6
.LBB0_166:                              ;   Parent Loop BB0_163 Depth=1
                                        ; =>  This Inner Loop Header: Depth=2
	flat_load_ubyte v6, v[11:12]
	v_mov_b32_e32 v14, s14
	v_add_co_u32 v11, vcc_lo, v11, 1
	v_add_co_ci_u32_e32 v12, vcc_lo, 0, v12, vcc_lo
	s_waitcnt vmcnt(0) lgkmcnt(0)
	v_and_b32_e32 v13, 0xffff, v6
	v_lshlrev_b64 v[13:14], s8, v[13:14]
	s_add_u32 s8, s8, 8
	s_addc_u32 s9, s9, 0
	v_cmp_eq_u32_e64 s4, s8, v10
	v_or_b32_e32 v5, v14, v5
	v_or_b32_e32 v4, v13, v4
	s_or_b32 s11, s4, s11
	s_andn2_b32 exec_lo, exec_lo, s11
	s_cbranch_execnz .LBB0_166
; %bb.167:                              ;   in Loop: Header=BB0_163 Depth=1
	s_or_b32 exec_lo, exec_lo, s11
.LBB0_168:                              ;   in Loop: Header=BB0_163 Depth=1
	s_or_b32 exec_lo, exec_lo, s10
	s_mov_b32 s8, 0
.LBB0_169:                              ;   in Loop: Header=BB0_163 Depth=1
	s_or_saveexec_b32 s4, s5
	v_mov_b32_e32 v23, v1
	v_mov_b32_e32 v6, s8
	;; [unrolled: 1-line block ×3, first 2 shown]
	s_xor_b32 exec_lo, exec_lo, s4
	s_cbranch_execz .LBB0_171
; %bb.170:                              ;   in Loop: Header=BB0_163 Depth=1
	s_waitcnt vmcnt(0)
	flat_load_dwordx2 v[4:5], v[0:1]
	v_add_co_u32 v22, vcc_lo, v0, 8
	v_add_co_ci_u32_e32 v23, vcc_lo, 0, v1, vcc_lo
	s_waitcnt vmcnt(0) lgkmcnt(0)
	v_and_b32_e32 v6, 0xff, v5
	v_and_b32_e32 v10, 0xff00, v5
	;; [unrolled: 1-line block ×4, first 2 shown]
	v_or3_b32 v4, v4, 0, 0
	v_or_b32_e32 v10, v6, v10
	v_add_nc_u32_e32 v6, -8, v28
	v_or3_b32 v5, v10, v11, v5
.LBB0_171:                              ;   in Loop: Header=BB0_163 Depth=1
	s_or_b32 exec_lo, exec_lo, s4
                                        ; implicit-def: $vgpr10_vgpr11
                                        ; implicit-def: $sgpr5
	s_mov_b32 s4, exec_lo
	v_cmpx_gt_u32_e32 8, v6
	s_xor_b32 s10, exec_lo, s4
	s_cbranch_execz .LBB0_177
; %bb.172:                              ;   in Loop: Header=BB0_163 Depth=1
	v_mov_b32_e32 v10, 0
	v_mov_b32_e32 v11, 0
	s_mov_b32 s11, exec_lo
	v_cmpx_ne_u32_e32 0, v6
	s_cbranch_execz .LBB0_176
; %bb.173:                              ;   in Loop: Header=BB0_163 Depth=1
	v_mov_b32_e32 v10, 0
	v_mov_b32_e32 v11, 0
	s_mov_b64 s[4:5], 0
	s_mov_b32 s15, 0
	s_mov_b64 s[8:9], 0
	.p2align	6
.LBB0_174:                              ;   Parent Loop BB0_163 Depth=1
                                        ; =>  This Inner Loop Header: Depth=2
	v_add_co_u32 v12, vcc_lo, v22, s8
	v_add_co_ci_u32_e32 v13, vcc_lo, s9, v23, vcc_lo
	s_add_u32 s8, s8, 1
	s_addc_u32 s9, s9, 0
	v_cmp_eq_u32_e32 vcc_lo, s8, v6
	flat_load_ubyte v12, v[12:13]
	v_mov_b32_e32 v13, s14
	s_waitcnt vmcnt(0) lgkmcnt(0)
	v_and_b32_e32 v12, 0xffff, v12
	v_lshlrev_b64 v[12:13], s4, v[12:13]
	s_add_u32 s4, s4, 8
	s_addc_u32 s5, s5, 0
	s_or_b32 s15, vcc_lo, s15
	v_or_b32_e32 v11, v13, v11
	v_or_b32_e32 v10, v12, v10
	s_andn2_b32 exec_lo, exec_lo, s15
	s_cbranch_execnz .LBB0_174
; %bb.175:                              ;   in Loop: Header=BB0_163 Depth=1
	s_or_b32 exec_lo, exec_lo, s15
.LBB0_176:                              ;   in Loop: Header=BB0_163 Depth=1
	s_or_b32 exec_lo, exec_lo, s11
	s_mov_b32 s5, 0
                                        ; implicit-def: $vgpr6
.LBB0_177:                              ;   in Loop: Header=BB0_163 Depth=1
	s_or_saveexec_b32 s4, s10
	v_mov_b32_e32 v14, s5
	s_xor_b32 exec_lo, exec_lo, s4
	s_cbranch_execz .LBB0_179
; %bb.178:                              ;   in Loop: Header=BB0_163 Depth=1
	flat_load_dwordx2 v[10:11], v[22:23]
	v_add_co_u32 v22, vcc_lo, v22, 8
	v_add_nc_u32_e32 v14, -8, v6
	v_add_co_ci_u32_e32 v23, vcc_lo, 0, v23, vcc_lo
	s_waitcnt vmcnt(0) lgkmcnt(0)
	v_and_b32_e32 v12, 0xff, v11
	v_and_b32_e32 v13, 0xff00, v11
	;; [unrolled: 1-line block ×4, first 2 shown]
	v_or3_b32 v10, v10, 0, 0
	v_or_b32_e32 v12, v12, v13
	v_or3_b32 v11, v12, v15, v11
.LBB0_179:                              ;   in Loop: Header=BB0_163 Depth=1
	s_or_b32 exec_lo, exec_lo, s4
                                        ; implicit-def: $sgpr5
	s_mov_b32 s4, exec_lo
	v_cmpx_gt_u32_e32 8, v14
	s_xor_b32 s10, exec_lo, s4
	s_cbranch_execz .LBB0_185
; %bb.180:                              ;   in Loop: Header=BB0_163 Depth=1
	v_mov_b32_e32 v12, 0
	v_mov_b32_e32 v13, 0
	s_mov_b32 s11, exec_lo
	v_cmpx_ne_u32_e32 0, v14
	s_cbranch_execz .LBB0_184
; %bb.181:                              ;   in Loop: Header=BB0_163 Depth=1
	v_mov_b32_e32 v12, 0
	v_mov_b32_e32 v13, 0
	s_mov_b64 s[4:5], 0
	s_mov_b32 s15, 0
	s_mov_b64 s[8:9], 0
	.p2align	6
.LBB0_182:                              ;   Parent Loop BB0_163 Depth=1
                                        ; =>  This Inner Loop Header: Depth=2
	v_add_co_u32 v15, vcc_lo, v22, s8
	v_add_co_ci_u32_e32 v16, vcc_lo, s9, v23, vcc_lo
	s_add_u32 s8, s8, 1
	s_addc_u32 s9, s9, 0
	v_cmp_eq_u32_e32 vcc_lo, s8, v14
	flat_load_ubyte v6, v[15:16]
	v_mov_b32_e32 v16, s14
	s_waitcnt vmcnt(0) lgkmcnt(0)
	v_and_b32_e32 v15, 0xffff, v6
	v_lshlrev_b64 v[15:16], s4, v[15:16]
	s_add_u32 s4, s4, 8
	s_addc_u32 s5, s5, 0
	s_or_b32 s15, vcc_lo, s15
	v_or_b32_e32 v13, v16, v13
	v_or_b32_e32 v12, v15, v12
	s_andn2_b32 exec_lo, exec_lo, s15
	s_cbranch_execnz .LBB0_182
; %bb.183:                              ;   in Loop: Header=BB0_163 Depth=1
	s_or_b32 exec_lo, exec_lo, s15
.LBB0_184:                              ;   in Loop: Header=BB0_163 Depth=1
	s_or_b32 exec_lo, exec_lo, s11
	s_mov_b32 s5, 0
                                        ; implicit-def: $vgpr14
.LBB0_185:                              ;   in Loop: Header=BB0_163 Depth=1
	s_or_saveexec_b32 s4, s10
	v_mov_b32_e32 v6, s5
	s_xor_b32 exec_lo, exec_lo, s4
	s_cbranch_execz .LBB0_187
; %bb.186:                              ;   in Loop: Header=BB0_163 Depth=1
	flat_load_dwordx2 v[12:13], v[22:23]
	v_add_co_u32 v22, vcc_lo, v22, 8
	v_add_co_ci_u32_e32 v23, vcc_lo, 0, v23, vcc_lo
	s_waitcnt vmcnt(0) lgkmcnt(0)
	v_and_b32_e32 v6, 0xff, v13
	v_and_b32_e32 v15, 0xff00, v13
	;; [unrolled: 1-line block ×4, first 2 shown]
	v_or3_b32 v12, v12, 0, 0
	v_or_b32_e32 v15, v6, v15
	v_add_nc_u32_e32 v6, -8, v14
	v_or3_b32 v13, v15, v16, v13
.LBB0_187:                              ;   in Loop: Header=BB0_163 Depth=1
	s_or_b32 exec_lo, exec_lo, s4
                                        ; implicit-def: $vgpr14_vgpr15
                                        ; implicit-def: $sgpr5
	s_mov_b32 s4, exec_lo
	v_cmpx_gt_u32_e32 8, v6
	s_xor_b32 s10, exec_lo, s4
	s_cbranch_execz .LBB0_193
; %bb.188:                              ;   in Loop: Header=BB0_163 Depth=1
	v_mov_b32_e32 v14, 0
	v_mov_b32_e32 v15, 0
	s_mov_b32 s11, exec_lo
	v_cmpx_ne_u32_e32 0, v6
	s_cbranch_execz .LBB0_192
; %bb.189:                              ;   in Loop: Header=BB0_163 Depth=1
	v_mov_b32_e32 v14, 0
	v_mov_b32_e32 v15, 0
	s_mov_b64 s[4:5], 0
	s_mov_b32 s15, 0
	s_mov_b64 s[8:9], 0
	.p2align	6
.LBB0_190:                              ;   Parent Loop BB0_163 Depth=1
                                        ; =>  This Inner Loop Header: Depth=2
	v_add_co_u32 v16, vcc_lo, v22, s8
	v_add_co_ci_u32_e32 v17, vcc_lo, s9, v23, vcc_lo
	s_add_u32 s8, s8, 1
	s_addc_u32 s9, s9, 0
	v_cmp_eq_u32_e32 vcc_lo, s8, v6
	flat_load_ubyte v16, v[16:17]
	v_mov_b32_e32 v17, s14
	s_waitcnt vmcnt(0) lgkmcnt(0)
	v_and_b32_e32 v16, 0xffff, v16
	v_lshlrev_b64 v[16:17], s4, v[16:17]
	s_add_u32 s4, s4, 8
	s_addc_u32 s5, s5, 0
	s_or_b32 s15, vcc_lo, s15
	v_or_b32_e32 v15, v17, v15
	v_or_b32_e32 v14, v16, v14
	s_andn2_b32 exec_lo, exec_lo, s15
	s_cbranch_execnz .LBB0_190
; %bb.191:                              ;   in Loop: Header=BB0_163 Depth=1
	s_or_b32 exec_lo, exec_lo, s15
.LBB0_192:                              ;   in Loop: Header=BB0_163 Depth=1
	s_or_b32 exec_lo, exec_lo, s11
	s_mov_b32 s5, 0
                                        ; implicit-def: $vgpr6
.LBB0_193:                              ;   in Loop: Header=BB0_163 Depth=1
	s_or_saveexec_b32 s4, s10
	v_mov_b32_e32 v18, s5
	s_xor_b32 exec_lo, exec_lo, s4
	s_cbranch_execz .LBB0_195
; %bb.194:                              ;   in Loop: Header=BB0_163 Depth=1
	flat_load_dwordx2 v[14:15], v[22:23]
	v_add_co_u32 v22, vcc_lo, v22, 8
	v_add_nc_u32_e32 v18, -8, v6
	v_add_co_ci_u32_e32 v23, vcc_lo, 0, v23, vcc_lo
	s_waitcnt vmcnt(0) lgkmcnt(0)
	v_and_b32_e32 v16, 0xff, v15
	v_and_b32_e32 v17, 0xff00, v15
	;; [unrolled: 1-line block ×4, first 2 shown]
	v_or3_b32 v14, v14, 0, 0
	v_or_b32_e32 v16, v16, v17
	v_or3_b32 v15, v16, v19, v15
.LBB0_195:                              ;   in Loop: Header=BB0_163 Depth=1
	s_or_b32 exec_lo, exec_lo, s4
                                        ; implicit-def: $sgpr5
	s_mov_b32 s4, exec_lo
	v_cmpx_gt_u32_e32 8, v18
	s_xor_b32 s10, exec_lo, s4
	s_cbranch_execz .LBB0_201
; %bb.196:                              ;   in Loop: Header=BB0_163 Depth=1
	v_mov_b32_e32 v16, 0
	v_mov_b32_e32 v17, 0
	s_mov_b32 s11, exec_lo
	v_cmpx_ne_u32_e32 0, v18
	s_cbranch_execz .LBB0_200
; %bb.197:                              ;   in Loop: Header=BB0_163 Depth=1
	v_mov_b32_e32 v16, 0
	v_mov_b32_e32 v17, 0
	s_mov_b64 s[4:5], 0
	s_mov_b32 s15, 0
	s_mov_b64 s[8:9], 0
	.p2align	6
.LBB0_198:                              ;   Parent Loop BB0_163 Depth=1
                                        ; =>  This Inner Loop Header: Depth=2
	v_add_co_u32 v19, vcc_lo, v22, s8
	v_add_co_ci_u32_e32 v20, vcc_lo, s9, v23, vcc_lo
	s_add_u32 s8, s8, 1
	s_addc_u32 s9, s9, 0
	v_cmp_eq_u32_e32 vcc_lo, s8, v18
	flat_load_ubyte v6, v[19:20]
	v_mov_b32_e32 v20, s14
	s_waitcnt vmcnt(0) lgkmcnt(0)
	v_and_b32_e32 v19, 0xffff, v6
	v_lshlrev_b64 v[19:20], s4, v[19:20]
	s_add_u32 s4, s4, 8
	s_addc_u32 s5, s5, 0
	s_or_b32 s15, vcc_lo, s15
	v_or_b32_e32 v17, v20, v17
	v_or_b32_e32 v16, v19, v16
	s_andn2_b32 exec_lo, exec_lo, s15
	s_cbranch_execnz .LBB0_198
; %bb.199:                              ;   in Loop: Header=BB0_163 Depth=1
	s_or_b32 exec_lo, exec_lo, s15
.LBB0_200:                              ;   in Loop: Header=BB0_163 Depth=1
	s_or_b32 exec_lo, exec_lo, s11
	s_mov_b32 s5, 0
                                        ; implicit-def: $vgpr18
.LBB0_201:                              ;   in Loop: Header=BB0_163 Depth=1
	s_or_saveexec_b32 s4, s10
	v_mov_b32_e32 v6, s5
	s_xor_b32 exec_lo, exec_lo, s4
	s_cbranch_execz .LBB0_203
; %bb.202:                              ;   in Loop: Header=BB0_163 Depth=1
	flat_load_dwordx2 v[16:17], v[22:23]
	v_add_co_u32 v22, vcc_lo, v22, 8
	v_add_co_ci_u32_e32 v23, vcc_lo, 0, v23, vcc_lo
	s_waitcnt vmcnt(0) lgkmcnt(0)
	v_and_b32_e32 v6, 0xff, v17
	v_and_b32_e32 v19, 0xff00, v17
	;; [unrolled: 1-line block ×4, first 2 shown]
	v_or3_b32 v16, v16, 0, 0
	v_or_b32_e32 v19, v6, v19
	v_add_nc_u32_e32 v6, -8, v18
	v_or3_b32 v17, v19, v20, v17
.LBB0_203:                              ;   in Loop: Header=BB0_163 Depth=1
	s_or_b32 exec_lo, exec_lo, s4
                                        ; implicit-def: $vgpr18_vgpr19
                                        ; implicit-def: $sgpr5
	s_mov_b32 s4, exec_lo
	v_cmpx_gt_u32_e32 8, v6
	s_xor_b32 s10, exec_lo, s4
	s_cbranch_execz .LBB0_209
; %bb.204:                              ;   in Loop: Header=BB0_163 Depth=1
	v_mov_b32_e32 v18, 0
	v_mov_b32_e32 v19, 0
	s_mov_b32 s11, exec_lo
	v_cmpx_ne_u32_e32 0, v6
	s_cbranch_execz .LBB0_208
; %bb.205:                              ;   in Loop: Header=BB0_163 Depth=1
	v_mov_b32_e32 v18, 0
	v_mov_b32_e32 v19, 0
	s_mov_b64 s[4:5], 0
	s_mov_b32 s15, 0
	s_mov_b64 s[8:9], 0
	.p2align	6
.LBB0_206:                              ;   Parent Loop BB0_163 Depth=1
                                        ; =>  This Inner Loop Header: Depth=2
	v_add_co_u32 v20, vcc_lo, v22, s8
	v_add_co_ci_u32_e32 v21, vcc_lo, s9, v23, vcc_lo
	s_add_u32 s8, s8, 1
	s_addc_u32 s9, s9, 0
	v_cmp_eq_u32_e32 vcc_lo, s8, v6
	flat_load_ubyte v20, v[20:21]
	v_mov_b32_e32 v21, s14
	s_waitcnt vmcnt(0) lgkmcnt(0)
	v_and_b32_e32 v20, 0xffff, v20
	v_lshlrev_b64 v[20:21], s4, v[20:21]
	s_add_u32 s4, s4, 8
	s_addc_u32 s5, s5, 0
	s_or_b32 s15, vcc_lo, s15
	v_or_b32_e32 v19, v21, v19
	v_or_b32_e32 v18, v20, v18
	s_andn2_b32 exec_lo, exec_lo, s15
	s_cbranch_execnz .LBB0_206
; %bb.207:                              ;   in Loop: Header=BB0_163 Depth=1
	s_or_b32 exec_lo, exec_lo, s15
.LBB0_208:                              ;   in Loop: Header=BB0_163 Depth=1
	s_or_b32 exec_lo, exec_lo, s11
	s_mov_b32 s5, 0
                                        ; implicit-def: $vgpr6
.LBB0_209:                              ;   in Loop: Header=BB0_163 Depth=1
	s_or_saveexec_b32 s4, s10
	v_mov_b32_e32 v24, s5
	s_xor_b32 exec_lo, exec_lo, s4
	s_cbranch_execz .LBB0_211
; %bb.210:                              ;   in Loop: Header=BB0_163 Depth=1
	flat_load_dwordx2 v[18:19], v[22:23]
	v_add_co_u32 v22, vcc_lo, v22, 8
	v_add_nc_u32_e32 v24, -8, v6
	v_add_co_ci_u32_e32 v23, vcc_lo, 0, v23, vcc_lo
	s_waitcnt vmcnt(0) lgkmcnt(0)
	v_and_b32_e32 v20, 0xff, v19
	v_and_b32_e32 v21, 0xff00, v19
	;; [unrolled: 1-line block ×4, first 2 shown]
	v_or3_b32 v18, v18, 0, 0
	v_or_b32_e32 v20, v20, v21
	v_or3_b32 v19, v20, v25, v19
.LBB0_211:                              ;   in Loop: Header=BB0_163 Depth=1
	s_or_b32 exec_lo, exec_lo, s4
	s_mov_b32 s4, exec_lo
	v_cmpx_gt_u32_e32 8, v24
	s_xor_b32 s8, exec_lo, s4
	s_cbranch_execz .LBB0_217
; %bb.212:                              ;   in Loop: Header=BB0_163 Depth=1
	v_mov_b32_e32 v20, 0
	v_mov_b32_e32 v21, 0
	s_mov_b32 s9, exec_lo
	v_cmpx_ne_u32_e32 0, v24
	s_cbranch_execz .LBB0_216
; %bb.213:                              ;   in Loop: Header=BB0_163 Depth=1
	v_mov_b32_e32 v20, 0
	v_mov_b32_e32 v21, 0
	s_mov_b64 s[4:5], 0
	s_mov_b32 s10, 0
	.p2align	6
.LBB0_214:                              ;   Parent Loop BB0_163 Depth=1
                                        ; =>  This Inner Loop Header: Depth=2
	flat_load_ubyte v6, v[22:23]
	v_mov_b32_e32 v31, s14
	v_add_nc_u32_e32 v24, -1, v24
	v_add_co_u32 v22, vcc_lo, v22, 1
	v_add_co_ci_u32_e32 v23, vcc_lo, 0, v23, vcc_lo
	v_cmp_eq_u32_e32 vcc_lo, 0, v24
	s_waitcnt vmcnt(0) lgkmcnt(0)
	v_and_b32_e32 v30, 0xffff, v6
	v_lshlrev_b64 v[30:31], s4, v[30:31]
	s_add_u32 s4, s4, 8
	s_addc_u32 s5, s5, 0
	s_or_b32 s10, vcc_lo, s10
	v_or_b32_e32 v21, v31, v21
	v_or_b32_e32 v20, v30, v20
	s_andn2_b32 exec_lo, exec_lo, s10
	s_cbranch_execnz .LBB0_214
; %bb.215:                              ;   in Loop: Header=BB0_163 Depth=1
	s_or_b32 exec_lo, exec_lo, s10
.LBB0_216:                              ;   in Loop: Header=BB0_163 Depth=1
	s_or_b32 exec_lo, exec_lo, s9
                                        ; implicit-def: $vgpr22_vgpr23
.LBB0_217:                              ;   in Loop: Header=BB0_163 Depth=1
	s_andn2_saveexec_b32 s4, s8
	s_cbranch_execz .LBB0_219
; %bb.218:                              ;   in Loop: Header=BB0_163 Depth=1
	flat_load_dwordx2 v[20:21], v[22:23]
	s_waitcnt vmcnt(0) lgkmcnt(0)
	v_and_b32_e32 v6, 0xff, v21
	v_and_b32_e32 v22, 0xff00, v21
	;; [unrolled: 1-line block ×4, first 2 shown]
	v_or3_b32 v20, v20, 0, 0
	v_or_b32_e32 v6, v6, v22
	v_or3_b32 v21, v6, v23, v21
.LBB0_219:                              ;   in Loop: Header=BB0_163 Depth=1
	s_or_b32 exec_lo, exec_lo, s4
	v_readfirstlane_b32 s4, v33
	v_mov_b32_e32 v30, 0
	v_mov_b32_e32 v31, 0
	v_cmp_eq_u32_e64 s4, s4, v33
	s_and_saveexec_b32 s5, s4
	s_cbranch_execz .LBB0_225
; %bb.220:                              ;   in Loop: Header=BB0_163 Depth=1
	global_load_dwordx2 v[24:25], v7, s[6:7] offset:24 glc dlc
	s_waitcnt vmcnt(0)
	buffer_gl1_inv
	buffer_gl0_inv
	s_clause 0x1
	global_load_dwordx2 v[22:23], v7, s[6:7] offset:40
	global_load_dwordx2 v[30:31], v7, s[6:7]
	s_mov_b32 s8, exec_lo
	s_waitcnt vmcnt(1)
	v_and_b32_e32 v6, v23, v25
	v_and_b32_e32 v22, v22, v24
	v_mul_lo_u32 v6, v6, 24
	v_mul_hi_u32 v23, v22, 24
	v_mul_lo_u32 v22, v22, 24
	v_add_nc_u32_e32 v6, v23, v6
	s_waitcnt vmcnt(0)
	v_add_co_u32 v22, vcc_lo, v30, v22
	v_add_co_ci_u32_e32 v23, vcc_lo, v31, v6, vcc_lo
	global_load_dwordx2 v[22:23], v[22:23], off glc dlc
	s_waitcnt vmcnt(0)
	global_atomic_cmpswap_x2 v[30:31], v7, v[22:25], s[6:7] offset:24 glc
	s_waitcnt vmcnt(0)
	buffer_gl1_inv
	buffer_gl0_inv
	v_cmpx_ne_u64_e64 v[30:31], v[24:25]
	s_cbranch_execz .LBB0_224
; %bb.221:                              ;   in Loop: Header=BB0_163 Depth=1
	s_mov_b32 s9, 0
	.p2align	6
.LBB0_222:                              ;   Parent Loop BB0_163 Depth=1
                                        ; =>  This Inner Loop Header: Depth=2
	s_sleep 1
	s_clause 0x1
	global_load_dwordx2 v[22:23], v7, s[6:7] offset:40
	global_load_dwordx2 v[34:35], v7, s[6:7]
	v_mov_b32_e32 v24, v30
	v_mov_b32_e32 v25, v31
	s_waitcnt vmcnt(1)
	v_and_b32_e32 v6, v22, v24
	v_and_b32_e32 v22, v23, v25
	s_waitcnt vmcnt(0)
	v_mad_u64_u32 v[30:31], null, v6, 24, v[34:35]
	v_mov_b32_e32 v6, v31
	v_mad_u64_u32 v[22:23], null, v22, 24, v[6:7]
	v_mov_b32_e32 v31, v22
	global_load_dwordx2 v[22:23], v[30:31], off glc dlc
	s_waitcnt vmcnt(0)
	global_atomic_cmpswap_x2 v[30:31], v7, v[22:25], s[6:7] offset:24 glc
	s_waitcnt vmcnt(0)
	buffer_gl1_inv
	buffer_gl0_inv
	v_cmp_eq_u64_e32 vcc_lo, v[30:31], v[24:25]
	s_or_b32 s9, vcc_lo, s9
	s_andn2_b32 exec_lo, exec_lo, s9
	s_cbranch_execnz .LBB0_222
; %bb.223:                              ;   in Loop: Header=BB0_163 Depth=1
	s_or_b32 exec_lo, exec_lo, s9
.LBB0_224:                              ;   in Loop: Header=BB0_163 Depth=1
	s_or_b32 exec_lo, exec_lo, s8
.LBB0_225:                              ;   in Loop: Header=BB0_163 Depth=1
	s_or_b32 exec_lo, exec_lo, s5
	s_clause 0x1
	global_load_dwordx2 v[34:35], v7, s[6:7] offset:40
	global_load_dwordx4 v[22:25], v7, s[6:7]
	v_readfirstlane_b32 s8, v30
	v_readfirstlane_b32 s9, v31
	s_mov_b32 s5, exec_lo
	s_waitcnt vmcnt(1)
	v_readfirstlane_b32 s10, v34
	v_readfirstlane_b32 s11, v35
	s_and_b64 s[10:11], s[8:9], s[10:11]
	s_mul_i32 s15, s11, 24
	s_mul_hi_u32 s16, s10, 24
	s_mul_i32 s17, s10, 24
	s_add_i32 s16, s16, s15
	s_waitcnt vmcnt(0)
	v_add_co_u32 v30, vcc_lo, v22, s17
	v_add_co_ci_u32_e32 v31, vcc_lo, s16, v23, vcc_lo
	s_and_saveexec_b32 s15, s4
	s_cbranch_execz .LBB0_227
; %bb.226:                              ;   in Loop: Header=BB0_163 Depth=1
	v_mov_b32_e32 v6, s5
	global_store_dwordx4 v[30:31], v[6:9], off offset:8
.LBB0_227:                              ;   in Loop: Header=BB0_163 Depth=1
	s_or_b32 exec_lo, exec_lo, s15
	s_lshl_b64 s[10:11], s[10:11], 12
	v_or_b32_e32 v6, 2, v2
	v_add_co_u32 v24, vcc_lo, v24, s10
	v_add_co_ci_u32_e32 v25, vcc_lo, s11, v25, vcc_lo
	v_cmp_lt_u64_e32 vcc_lo, 56, v[26:27]
	v_lshl_add_u32 v34, v28, 2, 28
	v_readfirstlane_b32 s10, v24
	v_readfirstlane_b32 s11, v25
	v_cndmask_b32_e32 v2, v6, v2, vcc_lo
	v_and_b32_e32 v6, 0x1e0, v34
	v_and_or_b32 v2, 0xffffff1f, v2, v6
	global_store_dwordx4 v32, v[10:13], s[10:11] offset:16
	global_store_dwordx4 v32, v[14:17], s[10:11] offset:32
	global_store_dwordx4 v32, v[2:5], s[10:11]
	global_store_dwordx4 v32, v[18:21], s[10:11] offset:48
	s_and_saveexec_b32 s5, s4
	s_cbranch_execz .LBB0_235
; %bb.228:                              ;   in Loop: Header=BB0_163 Depth=1
	s_clause 0x1
	global_load_dwordx2 v[14:15], v7, s[6:7] offset:32 glc dlc
	global_load_dwordx2 v[2:3], v7, s[6:7] offset:40
	v_mov_b32_e32 v12, s8
	v_mov_b32_e32 v13, s9
	s_waitcnt vmcnt(0)
	v_readfirstlane_b32 s10, v2
	v_readfirstlane_b32 s11, v3
	s_and_b64 s[10:11], s[10:11], s[8:9]
	s_mul_i32 s11, s11, 24
	s_mul_hi_u32 s15, s10, 24
	s_mul_i32 s10, s10, 24
	s_add_i32 s15, s15, s11
	v_add_co_u32 v10, vcc_lo, v22, s10
	v_add_co_ci_u32_e32 v11, vcc_lo, s15, v23, vcc_lo
	s_mov_b32 s10, exec_lo
	global_store_dwordx2 v[10:11], v[14:15], off
	s_waitcnt_vscnt null, 0x0
	global_atomic_cmpswap_x2 v[4:5], v7, v[12:15], s[6:7] offset:32 glc
	s_waitcnt vmcnt(0)
	v_cmpx_ne_u64_e64 v[4:5], v[14:15]
	s_cbranch_execz .LBB0_231
; %bb.229:                              ;   in Loop: Header=BB0_163 Depth=1
	s_mov_b32 s11, 0
.LBB0_230:                              ;   Parent Loop BB0_163 Depth=1
                                        ; =>  This Inner Loop Header: Depth=2
	v_mov_b32_e32 v2, s8
	v_mov_b32_e32 v3, s9
	s_sleep 1
	global_store_dwordx2 v[10:11], v[4:5], off
	s_waitcnt_vscnt null, 0x0
	global_atomic_cmpswap_x2 v[2:3], v7, v[2:5], s[6:7] offset:32 glc
	s_waitcnt vmcnt(0)
	v_cmp_eq_u64_e32 vcc_lo, v[2:3], v[4:5]
	v_mov_b32_e32 v5, v3
	v_mov_b32_e32 v4, v2
	s_or_b32 s11, vcc_lo, s11
	s_andn2_b32 exec_lo, exec_lo, s11
	s_cbranch_execnz .LBB0_230
.LBB0_231:                              ;   in Loop: Header=BB0_163 Depth=1
	s_or_b32 exec_lo, exec_lo, s10
	global_load_dwordx2 v[2:3], v7, s[6:7] offset:16
	s_mov_b32 s11, exec_lo
	s_mov_b32 s10, exec_lo
	v_mbcnt_lo_u32_b32 v4, s11, 0
	v_cmpx_eq_u32_e32 0, v4
	s_cbranch_execz .LBB0_233
; %bb.232:                              ;   in Loop: Header=BB0_163 Depth=1
	s_bcnt1_i32_b32 s11, s11
	v_mov_b32_e32 v6, s11
	s_waitcnt vmcnt(0)
	global_atomic_add_x2 v[2:3], v[6:7], off offset:8
.LBB0_233:                              ;   in Loop: Header=BB0_163 Depth=1
	s_or_b32 exec_lo, exec_lo, s10
	s_waitcnt vmcnt(0)
	global_load_dwordx2 v[4:5], v[2:3], off offset:16
	s_waitcnt vmcnt(0)
	v_cmp_eq_u64_e32 vcc_lo, 0, v[4:5]
	s_cbranch_vccnz .LBB0_235
; %bb.234:                              ;   in Loop: Header=BB0_163 Depth=1
	global_load_dword v6, v[2:3], off offset:24
	s_waitcnt vmcnt(0)
	v_and_b32_e32 v2, 0x7fffff, v6
	s_waitcnt_vscnt null, 0x0
	global_store_dwordx2 v[4:5], v[6:7], off
	v_readfirstlane_b32 m0, v2
	s_sendmsg sendmsg(MSG_INTERRUPT)
.LBB0_235:                              ;   in Loop: Header=BB0_163 Depth=1
	s_or_b32 exec_lo, exec_lo, s5
	v_add_co_u32 v2, vcc_lo, v24, v32
	v_add_co_ci_u32_e32 v3, vcc_lo, 0, v25, vcc_lo
	s_branch .LBB0_239
	.p2align	6
.LBB0_236:                              ;   in Loop: Header=BB0_239 Depth=2
	s_or_b32 exec_lo, exec_lo, s5
	v_readfirstlane_b32 s5, v4
	s_cmp_eq_u32 s5, 0
	s_cbranch_scc1 .LBB0_238
; %bb.237:                              ;   in Loop: Header=BB0_239 Depth=2
	s_sleep 1
	s_cbranch_execnz .LBB0_239
	s_branch .LBB0_241
	.p2align	6
.LBB0_238:                              ;   in Loop: Header=BB0_163 Depth=1
	s_branch .LBB0_241
.LBB0_239:                              ;   Parent Loop BB0_163 Depth=1
                                        ; =>  This Inner Loop Header: Depth=2
	v_mov_b32_e32 v4, 1
	s_and_saveexec_b32 s5, s4
	s_cbranch_execz .LBB0_236
; %bb.240:                              ;   in Loop: Header=BB0_239 Depth=2
	global_load_dword v4, v[30:31], off offset:20 glc dlc
	s_waitcnt vmcnt(0)
	buffer_gl1_inv
	buffer_gl0_inv
	v_and_b32_e32 v4, 1, v4
	s_branch .LBB0_236
.LBB0_241:                              ;   in Loop: Header=BB0_163 Depth=1
	global_load_dwordx4 v[2:5], v[2:3], off
	s_and_saveexec_b32 s5, s4
	s_cbranch_execz .LBB0_162
; %bb.242:                              ;   in Loop: Header=BB0_163 Depth=1
	s_clause 0x2
	global_load_dwordx2 v[4:5], v7, s[6:7] offset:40
	global_load_dwordx2 v[14:15], v7, s[6:7] offset:24 glc dlc
	global_load_dwordx2 v[12:13], v7, s[6:7]
	s_waitcnt vmcnt(2)
	v_add_co_u32 v6, vcc_lo, v4, 1
	v_add_co_ci_u32_e32 v16, vcc_lo, 0, v5, vcc_lo
	v_add_co_u32 v10, vcc_lo, v6, s8
	v_add_co_ci_u32_e32 v11, vcc_lo, s9, v16, vcc_lo
	v_cmp_eq_u64_e32 vcc_lo, 0, v[10:11]
	v_cndmask_b32_e32 v11, v11, v16, vcc_lo
	v_cndmask_b32_e32 v10, v10, v6, vcc_lo
	v_and_b32_e32 v5, v11, v5
	v_and_b32_e32 v4, v10, v4
	v_mul_lo_u32 v5, v5, 24
	v_mul_hi_u32 v6, v4, 24
	v_mul_lo_u32 v4, v4, 24
	v_add_nc_u32_e32 v5, v6, v5
	s_waitcnt vmcnt(0)
	v_add_co_u32 v4, vcc_lo, v12, v4
	v_mov_b32_e32 v12, v14
	v_add_co_ci_u32_e32 v5, vcc_lo, v13, v5, vcc_lo
	v_mov_b32_e32 v13, v15
	global_store_dwordx2 v[4:5], v[14:15], off
	s_waitcnt_vscnt null, 0x0
	global_atomic_cmpswap_x2 v[12:13], v7, v[10:13], s[6:7] offset:24 glc
	s_waitcnt vmcnt(0)
	v_cmp_ne_u64_e32 vcc_lo, v[12:13], v[14:15]
	s_and_b32 exec_lo, exec_lo, vcc_lo
	s_cbranch_execz .LBB0_162
; %bb.243:                              ;   in Loop: Header=BB0_163 Depth=1
	s_mov_b32 s4, 0
.LBB0_244:                              ;   Parent Loop BB0_163 Depth=1
                                        ; =>  This Inner Loop Header: Depth=2
	s_sleep 1
	global_store_dwordx2 v[4:5], v[12:13], off
	s_waitcnt_vscnt null, 0x0
	global_atomic_cmpswap_x2 v[14:15], v7, v[10:13], s[6:7] offset:24 glc
	s_waitcnt vmcnt(0)
	v_cmp_eq_u64_e32 vcc_lo, v[14:15], v[12:13]
	v_mov_b32_e32 v12, v14
	v_mov_b32_e32 v13, v15
	s_or_b32 s4, vcc_lo, s4
	s_andn2_b32 exec_lo, exec_lo, s4
	s_cbranch_execnz .LBB0_244
	s_branch .LBB0_162
.LBB0_245:
	s_and_saveexec_b32 s10, s4
	s_cbranch_execz .LBB0_249
; %bb.246:
	v_mov_b32_e32 v6, 0
	s_clause 0x2
	global_load_dwordx2 v[2:3], v6, s[6:7] offset:40
	global_load_dwordx2 v[7:8], v6, s[6:7] offset:24 glc dlc
	global_load_dwordx2 v[4:5], v6, s[6:7]
	s_waitcnt vmcnt(2)
	v_add_co_u32 v9, vcc_lo, v2, 1
	v_add_co_ci_u32_e32 v10, vcc_lo, 0, v3, vcc_lo
	v_add_co_u32 v0, vcc_lo, v9, s8
	v_add_co_ci_u32_e32 v1, vcc_lo, s9, v10, vcc_lo
	v_cmp_eq_u64_e32 vcc_lo, 0, v[0:1]
	v_cndmask_b32_e32 v1, v1, v10, vcc_lo
	v_cndmask_b32_e32 v0, v0, v9, vcc_lo
	v_and_b32_e32 v3, v1, v3
	v_and_b32_e32 v2, v0, v2
	v_mul_lo_u32 v3, v3, 24
	v_mul_hi_u32 v9, v2, 24
	v_mul_lo_u32 v2, v2, 24
	v_add_nc_u32_e32 v3, v9, v3
	s_waitcnt vmcnt(0)
	v_add_co_u32 v4, vcc_lo, v4, v2
	v_mov_b32_e32 v2, v7
	v_add_co_ci_u32_e32 v5, vcc_lo, v5, v3, vcc_lo
	v_mov_b32_e32 v3, v8
	global_store_dwordx2 v[4:5], v[7:8], off
	s_waitcnt_vscnt null, 0x0
	global_atomic_cmpswap_x2 v[2:3], v6, v[0:3], s[6:7] offset:24 glc
	s_waitcnt vmcnt(0)
	v_cmp_ne_u64_e32 vcc_lo, v[2:3], v[7:8]
	s_and_b32 exec_lo, exec_lo, vcc_lo
	s_cbranch_execz .LBB0_249
; %bb.247:
	s_mov_b32 s4, 0
.LBB0_248:                              ; =>This Inner Loop Header: Depth=1
	s_sleep 1
	global_store_dwordx2 v[4:5], v[2:3], off
	s_waitcnt_vscnt null, 0x0
	global_atomic_cmpswap_x2 v[7:8], v6, v[0:3], s[6:7] offset:24 glc
	s_waitcnt vmcnt(0)
	v_cmp_eq_u64_e32 vcc_lo, v[7:8], v[2:3]
	v_mov_b32_e32 v2, v7
	v_mov_b32_e32 v3, v8
	s_or_b32 s4, vcc_lo, s4
	s_andn2_b32 exec_lo, exec_lo, s4
	s_cbranch_execnz .LBB0_248
.LBB0_249:
	s_or_b32 exec_lo, exec_lo, s10
	s_or_b32 exec_lo, exec_lo, s5
	s_waitcnt lgkmcnt(0)
	s_setpc_b64 s[30:31]
.LBB0_250:
	s_or_b32 exec_lo, exec_lo, s13
                                        ; implicit-def: $vgpr2_vgpr3
                                        ; implicit-def: $vgpr32
                                        ; implicit-def: $vgpr33
	s_andn2_saveexec_b32 s5, s12
	s_cbranch_execnz .LBB0_136
.LBB0_251:
	s_or_b32 exec_lo, exec_lo, s5
	s_waitcnt vmcnt(0) lgkmcnt(0)
	s_setpc_b64 s[30:31]
.Lfunc_end0:
	.size	_ZNK8migraphx13basic_printerIZNS_4coutEvEUlT_E_ElsEPKc, .Lfunc_end0-_ZNK8migraphx13basic_printerIZNS_4coutEvEUlT_E_ElsEPKc
                                        ; -- End function
	.section	.AMDGPU.csdata,"",@progbits
; Function info:
; codeLenInByte = 9188
; NumSgprs: 34
; NumVgprs: 36
; ScratchSize: 0
; MemoryBound: 0
	.text
	.p2align	2                               ; -- Begin function _ZN8migraphx4testlsIKNS_13basic_printerIZNS_4coutEvEUlT_E_EEEERS3_S7_RKNS0_14lhs_expressionIbNS0_3nopEEE
	.type	_ZN8migraphx4testlsIKNS_13basic_printerIZNS_4coutEvEUlT_E_EEEERS3_S7_RKNS0_14lhs_expressionIbNS0_3nopEEE,@function
_ZN8migraphx4testlsIKNS_13basic_printerIZNS_4coutEvEUlT_E_EEEERS3_S7_RKNS0_14lhs_expressionIbNS0_3nopEEE: ; @_ZN8migraphx4testlsIKNS_13basic_printerIZNS_4coutEvEUlT_E_EEEERS3_S7_RKNS0_14lhs_expressionIbNS0_3nopEEE
; %bb.0:
	s_waitcnt vmcnt(0) expcnt(0) lgkmcnt(0)
	s_load_dwordx2 s[6:7], s[8:9], 0x50
	v_and_b32_e32 v0, 1, v0
	v_mbcnt_lo_u32_b32 v28, -1, 0
	v_cmp_eq_u32_e32 vcc_lo, 1, v0
	s_xor_b32 s4, vcc_lo, -1
	s_and_saveexec_b32 s5, s4
	s_xor_b32 s18, exec_lo, s5
	s_cbranch_execz .LBB1_106
; %bb.1:
	v_readfirstlane_b32 s4, v28
	v_mov_b32_e32 v6, 0
	v_mov_b32_e32 v7, 0
	v_cmp_eq_u32_e64 s4, s4, v28
	s_and_saveexec_b32 s5, s4
	s_cbranch_execz .LBB1_7
; %bb.2:
	v_mov_b32_e32 v0, 0
	s_mov_b32 s8, exec_lo
	s_waitcnt lgkmcnt(0)
	global_load_dwordx2 v[3:4], v0, s[6:7] offset:24 glc dlc
	s_waitcnt vmcnt(0)
	buffer_gl1_inv
	buffer_gl0_inv
	s_clause 0x1
	global_load_dwordx2 v[1:2], v0, s[6:7] offset:40
	global_load_dwordx2 v[5:6], v0, s[6:7]
	s_waitcnt vmcnt(1)
	v_and_b32_e32 v2, v2, v4
	v_and_b32_e32 v1, v1, v3
	v_mul_lo_u32 v2, v2, 24
	v_mul_hi_u32 v7, v1, 24
	v_mul_lo_u32 v1, v1, 24
	v_add_nc_u32_e32 v2, v7, v2
	s_waitcnt vmcnt(0)
	v_add_co_u32 v1, vcc_lo, v5, v1
	v_add_co_ci_u32_e32 v2, vcc_lo, v6, v2, vcc_lo
	global_load_dwordx2 v[1:2], v[1:2], off glc dlc
	s_waitcnt vmcnt(0)
	global_atomic_cmpswap_x2 v[6:7], v0, v[1:4], s[6:7] offset:24 glc
	s_waitcnt vmcnt(0)
	buffer_gl1_inv
	buffer_gl0_inv
	v_cmpx_ne_u64_e64 v[6:7], v[3:4]
	s_cbranch_execz .LBB1_6
; %bb.3:
	s_mov_b32 s9, 0
	.p2align	6
.LBB1_4:                                ; =>This Inner Loop Header: Depth=1
	s_sleep 1
	s_clause 0x1
	global_load_dwordx2 v[1:2], v0, s[6:7] offset:40
	global_load_dwordx2 v[8:9], v0, s[6:7]
	v_mov_b32_e32 v3, v6
	v_mov_b32_e32 v4, v7
	s_waitcnt vmcnt(1)
	v_and_b32_e32 v1, v1, v3
	v_and_b32_e32 v2, v2, v4
	s_waitcnt vmcnt(0)
	v_mad_u64_u32 v[5:6], null, v1, 24, v[8:9]
	v_mov_b32_e32 v1, v6
	v_mad_u64_u32 v[1:2], null, v2, 24, v[1:2]
	v_mov_b32_e32 v6, v1
	global_load_dwordx2 v[1:2], v[5:6], off glc dlc
	s_waitcnt vmcnt(0)
	global_atomic_cmpswap_x2 v[6:7], v0, v[1:4], s[6:7] offset:24 glc
	s_waitcnt vmcnt(0)
	buffer_gl1_inv
	buffer_gl0_inv
	v_cmp_eq_u64_e32 vcc_lo, v[6:7], v[3:4]
	s_or_b32 s9, vcc_lo, s9
	s_andn2_b32 exec_lo, exec_lo, s9
	s_cbranch_execnz .LBB1_4
; %bb.5:
	s_or_b32 exec_lo, exec_lo, s9
.LBB1_6:
	s_or_b32 exec_lo, exec_lo, s8
.LBB1_7:
	s_or_b32 exec_lo, exec_lo, s5
	v_mov_b32_e32 v5, 0
	v_readfirstlane_b32 s8, v6
	v_readfirstlane_b32 s9, v7
	s_mov_b32 s5, exec_lo
	s_waitcnt lgkmcnt(0)
	s_clause 0x1
	global_load_dwordx2 v[8:9], v5, s[6:7] offset:40
	global_load_dwordx4 v[0:3], v5, s[6:7]
	s_waitcnt vmcnt(1)
	v_readfirstlane_b32 s10, v8
	v_readfirstlane_b32 s11, v9
	s_and_b64 s[10:11], s[8:9], s[10:11]
	s_mul_i32 s12, s11, 24
	s_mul_hi_u32 s13, s10, 24
	s_mul_i32 s14, s10, 24
	s_add_i32 s13, s13, s12
	s_waitcnt vmcnt(0)
	v_add_co_u32 v8, vcc_lo, v0, s14
	v_add_co_ci_u32_e32 v9, vcc_lo, s13, v1, vcc_lo
	s_and_saveexec_b32 s12, s4
	s_cbranch_execz .LBB1_9
; %bb.8:
	v_mov_b32_e32 v4, s5
	v_mov_b32_e32 v6, 2
	;; [unrolled: 1-line block ×3, first 2 shown]
	global_store_dwordx4 v[8:9], v[4:7], off offset:8
.LBB1_9:
	s_or_b32 exec_lo, exec_lo, s12
	s_lshl_b64 s[10:11], s[10:11], 12
	v_lshlrev_b32_e32 v29, 6, v28
	v_add_co_u32 v2, vcc_lo, v2, s10
	v_add_co_ci_u32_e32 v3, vcc_lo, s11, v3, vcc_lo
	s_mov_b32 s12, 0
	v_add_co_u32 v10, vcc_lo, v2, v29
	s_mov_b32 s13, s12
	s_mov_b32 s14, s12
	;; [unrolled: 1-line block ×3, first 2 shown]
	v_mov_b32_e32 v4, 33
	v_mov_b32_e32 v6, v5
	;; [unrolled: 1-line block ×3, first 2 shown]
	v_readfirstlane_b32 s10, v2
	v_readfirstlane_b32 s11, v3
	v_mov_b32_e32 v12, s12
	v_add_co_ci_u32_e32 v11, vcc_lo, 0, v3, vcc_lo
	v_mov_b32_e32 v13, s13
	v_mov_b32_e32 v14, s14
	v_mov_b32_e32 v15, s15
	global_store_dwordx4 v29, v[4:7], s[10:11]
	global_store_dwordx4 v29, v[12:15], s[10:11] offset:16
	global_store_dwordx4 v29, v[12:15], s[10:11] offset:32
	;; [unrolled: 1-line block ×3, first 2 shown]
	s_and_saveexec_b32 s5, s4
	s_cbranch_execz .LBB1_17
; %bb.10:
	v_mov_b32_e32 v6, 0
	v_mov_b32_e32 v12, s8
	;; [unrolled: 1-line block ×3, first 2 shown]
	s_mov_b32 s10, exec_lo
	s_clause 0x1
	global_load_dwordx2 v[14:15], v6, s[6:7] offset:32 glc dlc
	global_load_dwordx2 v[2:3], v6, s[6:7] offset:40
	s_waitcnt vmcnt(0)
	v_and_b32_e32 v3, s9, v3
	v_and_b32_e32 v2, s8, v2
	v_mul_lo_u32 v3, v3, 24
	v_mul_hi_u32 v4, v2, 24
	v_mul_lo_u32 v2, v2, 24
	v_add_nc_u32_e32 v3, v4, v3
	v_add_co_u32 v4, vcc_lo, v0, v2
	v_add_co_ci_u32_e32 v5, vcc_lo, v1, v3, vcc_lo
	global_store_dwordx2 v[4:5], v[14:15], off
	s_waitcnt_vscnt null, 0x0
	global_atomic_cmpswap_x2 v[2:3], v6, v[12:15], s[6:7] offset:32 glc
	s_waitcnt vmcnt(0)
	v_cmpx_ne_u64_e64 v[2:3], v[14:15]
	s_cbranch_execz .LBB1_13
; %bb.11:
	s_mov_b32 s11, 0
.LBB1_12:                               ; =>This Inner Loop Header: Depth=1
	v_mov_b32_e32 v0, s8
	v_mov_b32_e32 v1, s9
	s_sleep 1
	global_store_dwordx2 v[4:5], v[2:3], off
	s_waitcnt_vscnt null, 0x0
	global_atomic_cmpswap_x2 v[0:1], v6, v[0:3], s[6:7] offset:32 glc
	s_waitcnt vmcnt(0)
	v_cmp_eq_u64_e32 vcc_lo, v[0:1], v[2:3]
	v_mov_b32_e32 v3, v1
	v_mov_b32_e32 v2, v0
	s_or_b32 s11, vcc_lo, s11
	s_andn2_b32 exec_lo, exec_lo, s11
	s_cbranch_execnz .LBB1_12
.LBB1_13:
	s_or_b32 exec_lo, exec_lo, s10
	v_mov_b32_e32 v3, 0
	s_mov_b32 s11, exec_lo
	s_mov_b32 s10, exec_lo
	v_mbcnt_lo_u32_b32 v2, s11, 0
	global_load_dwordx2 v[0:1], v3, s[6:7] offset:16
	v_cmpx_eq_u32_e32 0, v2
	s_cbranch_execz .LBB1_15
; %bb.14:
	s_bcnt1_i32_b32 s11, s11
	v_mov_b32_e32 v2, s11
	s_waitcnt vmcnt(0)
	global_atomic_add_x2 v[0:1], v[2:3], off offset:8
.LBB1_15:
	s_or_b32 exec_lo, exec_lo, s10
	s_waitcnt vmcnt(0)
	global_load_dwordx2 v[2:3], v[0:1], off offset:16
	s_waitcnt vmcnt(0)
	v_cmp_eq_u64_e32 vcc_lo, 0, v[2:3]
	s_cbranch_vccnz .LBB1_17
; %bb.16:
	global_load_dword v0, v[0:1], off offset:24
	v_mov_b32_e32 v1, 0
	s_waitcnt vmcnt(0)
	v_and_b32_e32 v4, 0x7fffff, v0
	s_waitcnt_vscnt null, 0x0
	global_store_dwordx2 v[2:3], v[0:1], off
	v_readfirstlane_b32 m0, v4
	s_sendmsg sendmsg(MSG_INTERRUPT)
.LBB1_17:
	s_or_b32 exec_lo, exec_lo, s5
	s_branch .LBB1_21
	.p2align	6
.LBB1_18:                               ;   in Loop: Header=BB1_21 Depth=1
	s_or_b32 exec_lo, exec_lo, s5
	v_readfirstlane_b32 s5, v0
	s_cmp_eq_u32 s5, 0
	s_cbranch_scc1 .LBB1_20
; %bb.19:                               ;   in Loop: Header=BB1_21 Depth=1
	s_sleep 1
	s_cbranch_execnz .LBB1_21
	s_branch .LBB1_23
	.p2align	6
.LBB1_20:
	s_branch .LBB1_23
.LBB1_21:                               ; =>This Inner Loop Header: Depth=1
	v_mov_b32_e32 v0, 1
	s_and_saveexec_b32 s5, s4
	s_cbranch_execz .LBB1_18
; %bb.22:                               ;   in Loop: Header=BB1_21 Depth=1
	global_load_dword v0, v[8:9], off offset:20 glc dlc
	s_waitcnt vmcnt(0)
	buffer_gl1_inv
	buffer_gl0_inv
	v_and_b32_e32 v0, 1, v0
	s_branch .LBB1_18
.LBB1_23:
	global_load_dwordx2 v[0:1], v[10:11], off
	s_and_saveexec_b32 s5, s4
	s_cbranch_execz .LBB1_27
; %bb.24:
	v_mov_b32_e32 v8, 0
	s_clause 0x2
	global_load_dwordx2 v[4:5], v8, s[6:7] offset:40
	global_load_dwordx2 v[9:10], v8, s[6:7] offset:24 glc dlc
	global_load_dwordx2 v[6:7], v8, s[6:7]
	s_waitcnt vmcnt(2)
	v_add_co_u32 v11, vcc_lo, v4, 1
	v_add_co_ci_u32_e32 v12, vcc_lo, 0, v5, vcc_lo
	v_add_co_u32 v2, vcc_lo, v11, s8
	v_add_co_ci_u32_e32 v3, vcc_lo, s9, v12, vcc_lo
	v_cmp_eq_u64_e32 vcc_lo, 0, v[2:3]
	v_cndmask_b32_e32 v3, v3, v12, vcc_lo
	v_cndmask_b32_e32 v2, v2, v11, vcc_lo
	v_and_b32_e32 v5, v3, v5
	v_and_b32_e32 v4, v2, v4
	v_mul_lo_u32 v5, v5, 24
	v_mul_hi_u32 v11, v4, 24
	v_mul_lo_u32 v4, v4, 24
	v_add_nc_u32_e32 v5, v11, v5
	s_waitcnt vmcnt(0)
	v_add_co_u32 v6, vcc_lo, v6, v4
	v_mov_b32_e32 v4, v9
	v_add_co_ci_u32_e32 v7, vcc_lo, v7, v5, vcc_lo
	v_mov_b32_e32 v5, v10
	global_store_dwordx2 v[6:7], v[9:10], off
	s_waitcnt_vscnt null, 0x0
	global_atomic_cmpswap_x2 v[4:5], v8, v[2:5], s[6:7] offset:24 glc
	s_waitcnt vmcnt(0)
	v_cmp_ne_u64_e32 vcc_lo, v[4:5], v[9:10]
	s_and_b32 exec_lo, exec_lo, vcc_lo
	s_cbranch_execz .LBB1_27
; %bb.25:
	s_mov_b32 s4, 0
.LBB1_26:                               ; =>This Inner Loop Header: Depth=1
	s_sleep 1
	global_store_dwordx2 v[6:7], v[4:5], off
	s_waitcnt_vscnt null, 0x0
	global_atomic_cmpswap_x2 v[9:10], v8, v[2:5], s[6:7] offset:24 glc
	s_waitcnt vmcnt(0)
	v_cmp_eq_u64_e32 vcc_lo, v[9:10], v[4:5]
	v_mov_b32_e32 v4, v9
	v_mov_b32_e32 v5, v10
	s_or_b32 s4, vcc_lo, s4
	s_andn2_b32 exec_lo, exec_lo, s4
	s_cbranch_execnz .LBB1_26
.LBB1_27:
	s_or_b32 exec_lo, exec_lo, s5
	s_getpc_b64 s[8:9]
	s_add_u32 s8, s8, .str.12@rel32@lo+4
	s_addc_u32 s9, s9, .str.12@rel32@hi+12
	s_cmp_lg_u64 s[8:9], 0
	s_cbranch_scc0 .LBB1_212
; %bb.28:
	s_waitcnt vmcnt(0)
	v_and_b32_e32 v6, -3, v0
	v_mov_b32_e32 v7, v1
	v_mov_b32_e32 v3, 0
	;; [unrolled: 1-line block ×4, first 2 shown]
	s_mov_b64 s[10:11], 6
	s_branch .LBB1_30
.LBB1_29:                               ;   in Loop: Header=BB1_30 Depth=1
	s_or_b32 exec_lo, exec_lo, s5
	s_sub_u32 s10, s10, s12
	s_subb_u32 s11, s11, s13
	s_add_u32 s8, s8, s12
	s_addc_u32 s9, s9, s13
	s_cmp_lg_u64 s[10:11], 0
	s_cbranch_scc0 .LBB1_105
.LBB1_30:                               ; =>This Loop Header: Depth=1
                                        ;     Child Loop BB1_39 Depth 2
                                        ;     Child Loop BB1_35 Depth 2
	;; [unrolled: 1-line block ×11, first 2 shown]
	v_cmp_lt_u64_e64 s4, s[10:11], 56
	v_cmp_gt_u64_e64 s5, s[10:11], 7
                                        ; implicit-def: $sgpr19
	s_and_b32 s4, s4, exec_lo
	s_cselect_b32 s13, s11, 0
	s_cselect_b32 s12, s10, 56
	s_and_b32 vcc_lo, exec_lo, s5
	s_mov_b32 s4, -1
	s_cbranch_vccz .LBB1_37
; %bb.31:                               ;   in Loop: Header=BB1_30 Depth=1
	s_andn2_b32 vcc_lo, exec_lo, s4
	s_mov_b64 s[4:5], s[8:9]
	s_cbranch_vccz .LBB1_41
.LBB1_32:                               ;   in Loop: Header=BB1_30 Depth=1
	s_cmp_gt_u32 s19, 7
	s_cbranch_scc1 .LBB1_42
.LBB1_33:                               ;   in Loop: Header=BB1_30 Depth=1
	v_mov_b32_e32 v10, 0
	v_mov_b32_e32 v11, 0
	s_cmp_eq_u32 s19, 0
	s_cbranch_scc1 .LBB1_36
; %bb.34:                               ;   in Loop: Header=BB1_30 Depth=1
	s_mov_b64 s[14:15], 0
	s_mov_b64 s[16:17], 0
.LBB1_35:                               ;   Parent Loop BB1_30 Depth=1
                                        ; =>  This Inner Loop Header: Depth=2
	s_add_u32 s20, s4, s16
	s_addc_u32 s21, s5, s17
	s_add_u32 s16, s16, 1
	global_load_ubyte v2, v3, s[20:21]
	s_addc_u32 s17, s17, 0
	s_waitcnt vmcnt(0)
	v_and_b32_e32 v2, 0xffff, v2
	v_lshlrev_b64 v[12:13], s14, v[2:3]
	s_add_u32 s14, s14, 8
	s_addc_u32 s15, s15, 0
	s_cmp_lg_u32 s19, s16
	v_or_b32_e32 v10, v12, v10
	v_or_b32_e32 v11, v13, v11
	s_cbranch_scc1 .LBB1_35
.LBB1_36:                               ;   in Loop: Header=BB1_30 Depth=1
	s_mov_b32 s20, 0
	s_cbranch_execz .LBB1_43
	s_branch .LBB1_44
.LBB1_37:                               ;   in Loop: Header=BB1_30 Depth=1
	s_waitcnt vmcnt(0)
	v_mov_b32_e32 v8, 0
	v_mov_b32_e32 v9, 0
	s_cmp_eq_u64 s[10:11], 0
	s_mov_b64 s[4:5], 0
	s_cbranch_scc1 .LBB1_40
; %bb.38:                               ;   in Loop: Header=BB1_30 Depth=1
	v_mov_b32_e32 v8, 0
	v_mov_b32_e32 v9, 0
	s_lshl_b64 s[14:15], s[12:13], 3
	s_mov_b64 s[16:17], s[8:9]
.LBB1_39:                               ;   Parent Loop BB1_30 Depth=1
                                        ; =>  This Inner Loop Header: Depth=2
	global_load_ubyte v2, v3, s[16:17]
	s_waitcnt vmcnt(0)
	v_and_b32_e32 v2, 0xffff, v2
	v_lshlrev_b64 v[10:11], s4, v[2:3]
	s_add_u32 s4, s4, 8
	s_addc_u32 s5, s5, 0
	s_add_u32 s16, s16, 1
	s_addc_u32 s17, s17, 0
	s_cmp_lg_u32 s14, s4
	v_or_b32_e32 v8, v10, v8
	v_or_b32_e32 v9, v11, v9
	s_cbranch_scc1 .LBB1_39
.LBB1_40:                               ;   in Loop: Header=BB1_30 Depth=1
	s_mov_b32 s19, 0
	s_mov_b64 s[4:5], s[8:9]
	s_cbranch_execnz .LBB1_32
.LBB1_41:                               ;   in Loop: Header=BB1_30 Depth=1
	global_load_dwordx2 v[8:9], v3, s[8:9]
	s_add_i32 s19, s12, -8
	s_add_u32 s4, s8, 8
	s_addc_u32 s5, s9, 0
	s_cmp_gt_u32 s19, 7
	s_cbranch_scc0 .LBB1_33
.LBB1_42:                               ;   in Loop: Header=BB1_30 Depth=1
                                        ; implicit-def: $vgpr10_vgpr11
                                        ; implicit-def: $sgpr20
.LBB1_43:                               ;   in Loop: Header=BB1_30 Depth=1
	global_load_dwordx2 v[10:11], v3, s[4:5]
	s_add_i32 s20, s19, -8
	s_add_u32 s4, s4, 8
	s_addc_u32 s5, s5, 0
.LBB1_44:                               ;   in Loop: Header=BB1_30 Depth=1
	s_cmp_gt_u32 s20, 7
	s_cbranch_scc1 .LBB1_49
; %bb.45:                               ;   in Loop: Header=BB1_30 Depth=1
	v_mov_b32_e32 v12, 0
	v_mov_b32_e32 v13, 0
	s_cmp_eq_u32 s20, 0
	s_cbranch_scc1 .LBB1_48
; %bb.46:                               ;   in Loop: Header=BB1_30 Depth=1
	s_mov_b64 s[14:15], 0
	s_mov_b64 s[16:17], 0
.LBB1_47:                               ;   Parent Loop BB1_30 Depth=1
                                        ; =>  This Inner Loop Header: Depth=2
	s_add_u32 s22, s4, s16
	s_addc_u32 s23, s5, s17
	s_add_u32 s16, s16, 1
	global_load_ubyte v2, v3, s[22:23]
	s_addc_u32 s17, s17, 0
	s_waitcnt vmcnt(0)
	v_and_b32_e32 v2, 0xffff, v2
	v_lshlrev_b64 v[14:15], s14, v[2:3]
	s_add_u32 s14, s14, 8
	s_addc_u32 s15, s15, 0
	s_cmp_lg_u32 s20, s16
	v_or_b32_e32 v12, v14, v12
	v_or_b32_e32 v13, v15, v13
	s_cbranch_scc1 .LBB1_47
.LBB1_48:                               ;   in Loop: Header=BB1_30 Depth=1
	s_mov_b32 s19, 0
	s_cbranch_execz .LBB1_50
	s_branch .LBB1_51
.LBB1_49:                               ;   in Loop: Header=BB1_30 Depth=1
                                        ; implicit-def: $sgpr19
.LBB1_50:                               ;   in Loop: Header=BB1_30 Depth=1
	global_load_dwordx2 v[12:13], v3, s[4:5]
	s_add_i32 s19, s20, -8
	s_add_u32 s4, s4, 8
	s_addc_u32 s5, s5, 0
.LBB1_51:                               ;   in Loop: Header=BB1_30 Depth=1
	s_cmp_gt_u32 s19, 7
	s_cbranch_scc1 .LBB1_56
; %bb.52:                               ;   in Loop: Header=BB1_30 Depth=1
	v_mov_b32_e32 v14, 0
	v_mov_b32_e32 v15, 0
	s_cmp_eq_u32 s19, 0
	s_cbranch_scc1 .LBB1_55
; %bb.53:                               ;   in Loop: Header=BB1_30 Depth=1
	s_mov_b64 s[14:15], 0
	s_mov_b64 s[16:17], 0
.LBB1_54:                               ;   Parent Loop BB1_30 Depth=1
                                        ; =>  This Inner Loop Header: Depth=2
	s_add_u32 s20, s4, s16
	s_addc_u32 s21, s5, s17
	s_add_u32 s16, s16, 1
	global_load_ubyte v2, v3, s[20:21]
	s_addc_u32 s17, s17, 0
	s_waitcnt vmcnt(0)
	v_and_b32_e32 v2, 0xffff, v2
	v_lshlrev_b64 v[16:17], s14, v[2:3]
	s_add_u32 s14, s14, 8
	s_addc_u32 s15, s15, 0
	s_cmp_lg_u32 s19, s16
	v_or_b32_e32 v14, v16, v14
	v_or_b32_e32 v15, v17, v15
	s_cbranch_scc1 .LBB1_54
.LBB1_55:                               ;   in Loop: Header=BB1_30 Depth=1
	s_mov_b32 s20, 0
	s_cbranch_execz .LBB1_57
	s_branch .LBB1_58
.LBB1_56:                               ;   in Loop: Header=BB1_30 Depth=1
                                        ; implicit-def: $vgpr14_vgpr15
                                        ; implicit-def: $sgpr20
.LBB1_57:                               ;   in Loop: Header=BB1_30 Depth=1
	global_load_dwordx2 v[14:15], v3, s[4:5]
	s_add_i32 s20, s19, -8
	s_add_u32 s4, s4, 8
	s_addc_u32 s5, s5, 0
.LBB1_58:                               ;   in Loop: Header=BB1_30 Depth=1
	s_cmp_gt_u32 s20, 7
	s_cbranch_scc1 .LBB1_63
; %bb.59:                               ;   in Loop: Header=BB1_30 Depth=1
	v_mov_b32_e32 v16, 0
	v_mov_b32_e32 v17, 0
	s_cmp_eq_u32 s20, 0
	s_cbranch_scc1 .LBB1_62
; %bb.60:                               ;   in Loop: Header=BB1_30 Depth=1
	s_mov_b64 s[14:15], 0
	s_mov_b64 s[16:17], 0
.LBB1_61:                               ;   Parent Loop BB1_30 Depth=1
                                        ; =>  This Inner Loop Header: Depth=2
	s_add_u32 s22, s4, s16
	s_addc_u32 s23, s5, s17
	s_add_u32 s16, s16, 1
	global_load_ubyte v2, v3, s[22:23]
	s_addc_u32 s17, s17, 0
	s_waitcnt vmcnt(0)
	v_and_b32_e32 v2, 0xffff, v2
	v_lshlrev_b64 v[18:19], s14, v[2:3]
	s_add_u32 s14, s14, 8
	s_addc_u32 s15, s15, 0
	s_cmp_lg_u32 s20, s16
	v_or_b32_e32 v16, v18, v16
	v_or_b32_e32 v17, v19, v17
	s_cbranch_scc1 .LBB1_61
.LBB1_62:                               ;   in Loop: Header=BB1_30 Depth=1
	s_mov_b32 s19, 0
	s_cbranch_execz .LBB1_64
	s_branch .LBB1_65
.LBB1_63:                               ;   in Loop: Header=BB1_30 Depth=1
                                        ; implicit-def: $sgpr19
.LBB1_64:                               ;   in Loop: Header=BB1_30 Depth=1
	global_load_dwordx2 v[16:17], v3, s[4:5]
	s_add_i32 s19, s20, -8
	s_add_u32 s4, s4, 8
	s_addc_u32 s5, s5, 0
.LBB1_65:                               ;   in Loop: Header=BB1_30 Depth=1
	s_cmp_gt_u32 s19, 7
	s_cbranch_scc1 .LBB1_70
; %bb.66:                               ;   in Loop: Header=BB1_30 Depth=1
	v_mov_b32_e32 v18, 0
	v_mov_b32_e32 v19, 0
	s_cmp_eq_u32 s19, 0
	s_cbranch_scc1 .LBB1_69
; %bb.67:                               ;   in Loop: Header=BB1_30 Depth=1
	s_mov_b64 s[14:15], 0
	s_mov_b64 s[16:17], 0
.LBB1_68:                               ;   Parent Loop BB1_30 Depth=1
                                        ; =>  This Inner Loop Header: Depth=2
	s_add_u32 s20, s4, s16
	s_addc_u32 s21, s5, s17
	s_add_u32 s16, s16, 1
	global_load_ubyte v2, v3, s[20:21]
	s_addc_u32 s17, s17, 0
	s_waitcnt vmcnt(0)
	v_and_b32_e32 v2, 0xffff, v2
	v_lshlrev_b64 v[20:21], s14, v[2:3]
	s_add_u32 s14, s14, 8
	s_addc_u32 s15, s15, 0
	s_cmp_lg_u32 s19, s16
	v_or_b32_e32 v18, v20, v18
	v_or_b32_e32 v19, v21, v19
	s_cbranch_scc1 .LBB1_68
.LBB1_69:                               ;   in Loop: Header=BB1_30 Depth=1
	s_mov_b32 s20, 0
	s_cbranch_execz .LBB1_71
	s_branch .LBB1_72
.LBB1_70:                               ;   in Loop: Header=BB1_30 Depth=1
                                        ; implicit-def: $vgpr18_vgpr19
                                        ; implicit-def: $sgpr20
.LBB1_71:                               ;   in Loop: Header=BB1_30 Depth=1
	global_load_dwordx2 v[18:19], v3, s[4:5]
	s_add_i32 s20, s19, -8
	s_add_u32 s4, s4, 8
	s_addc_u32 s5, s5, 0
.LBB1_72:                               ;   in Loop: Header=BB1_30 Depth=1
	s_cmp_gt_u32 s20, 7
	s_cbranch_scc1 .LBB1_77
; %bb.73:                               ;   in Loop: Header=BB1_30 Depth=1
	v_mov_b32_e32 v20, 0
	v_mov_b32_e32 v21, 0
	s_cmp_eq_u32 s20, 0
	s_cbranch_scc1 .LBB1_76
; %bb.74:                               ;   in Loop: Header=BB1_30 Depth=1
	s_mov_b64 s[14:15], 0
	s_mov_b64 s[16:17], s[4:5]
.LBB1_75:                               ;   Parent Loop BB1_30 Depth=1
                                        ; =>  This Inner Loop Header: Depth=2
	global_load_ubyte v2, v3, s[16:17]
	s_add_i32 s20, s20, -1
	s_waitcnt vmcnt(0)
	v_and_b32_e32 v2, 0xffff, v2
	v_lshlrev_b64 v[22:23], s14, v[2:3]
	s_add_u32 s14, s14, 8
	s_addc_u32 s15, s15, 0
	s_add_u32 s16, s16, 1
	s_addc_u32 s17, s17, 0
	s_cmp_lg_u32 s20, 0
	v_or_b32_e32 v20, v22, v20
	v_or_b32_e32 v21, v23, v21
	s_cbranch_scc1 .LBB1_75
.LBB1_76:                               ;   in Loop: Header=BB1_30 Depth=1
	s_cbranch_execz .LBB1_78
	s_branch .LBB1_79
.LBB1_77:                               ;   in Loop: Header=BB1_30 Depth=1
.LBB1_78:                               ;   in Loop: Header=BB1_30 Depth=1
	global_load_dwordx2 v[20:21], v3, s[4:5]
.LBB1_79:                               ;   in Loop: Header=BB1_30 Depth=1
	v_readfirstlane_b32 s4, v28
	v_mov_b32_e32 v26, 0
	v_mov_b32_e32 v27, 0
	v_cmp_eq_u32_e64 s4, s4, v28
	s_and_saveexec_b32 s5, s4
	s_cbranch_execz .LBB1_85
; %bb.80:                               ;   in Loop: Header=BB1_30 Depth=1
	global_load_dwordx2 v[24:25], v3, s[6:7] offset:24 glc dlc
	s_waitcnt vmcnt(0)
	buffer_gl1_inv
	buffer_gl0_inv
	s_clause 0x1
	global_load_dwordx2 v[22:23], v3, s[6:7] offset:40
	global_load_dwordx2 v[26:27], v3, s[6:7]
	s_mov_b32 s14, exec_lo
	s_waitcnt vmcnt(1)
	v_and_b32_e32 v2, v23, v25
	v_and_b32_e32 v22, v22, v24
	v_mul_lo_u32 v2, v2, 24
	v_mul_hi_u32 v23, v22, 24
	v_mul_lo_u32 v22, v22, 24
	v_add_nc_u32_e32 v2, v23, v2
	s_waitcnt vmcnt(0)
	v_add_co_u32 v22, vcc_lo, v26, v22
	v_add_co_ci_u32_e32 v23, vcc_lo, v27, v2, vcc_lo
	global_load_dwordx2 v[22:23], v[22:23], off glc dlc
	s_waitcnt vmcnt(0)
	global_atomic_cmpswap_x2 v[26:27], v3, v[22:25], s[6:7] offset:24 glc
	s_waitcnt vmcnt(0)
	buffer_gl1_inv
	buffer_gl0_inv
	v_cmpx_ne_u64_e64 v[26:27], v[24:25]
	s_cbranch_execz .LBB1_84
; %bb.81:                               ;   in Loop: Header=BB1_30 Depth=1
	s_mov_b32 s15, 0
	.p2align	6
.LBB1_82:                               ;   Parent Loop BB1_30 Depth=1
                                        ; =>  This Inner Loop Header: Depth=2
	s_sleep 1
	s_clause 0x1
	global_load_dwordx2 v[22:23], v3, s[6:7] offset:40
	global_load_dwordx2 v[30:31], v3, s[6:7]
	v_mov_b32_e32 v24, v26
	v_mov_b32_e32 v25, v27
	s_waitcnt vmcnt(1)
	v_and_b32_e32 v2, v22, v24
	v_and_b32_e32 v22, v23, v25
	s_waitcnt vmcnt(0)
	v_mad_u64_u32 v[26:27], null, v2, 24, v[30:31]
	v_mov_b32_e32 v2, v27
	v_mad_u64_u32 v[22:23], null, v22, 24, v[2:3]
	v_mov_b32_e32 v27, v22
	global_load_dwordx2 v[22:23], v[26:27], off glc dlc
	s_waitcnt vmcnt(0)
	global_atomic_cmpswap_x2 v[26:27], v3, v[22:25], s[6:7] offset:24 glc
	s_waitcnt vmcnt(0)
	buffer_gl1_inv
	buffer_gl0_inv
	v_cmp_eq_u64_e32 vcc_lo, v[26:27], v[24:25]
	s_or_b32 s15, vcc_lo, s15
	s_andn2_b32 exec_lo, exec_lo, s15
	s_cbranch_execnz .LBB1_82
; %bb.83:                               ;   in Loop: Header=BB1_30 Depth=1
	s_or_b32 exec_lo, exec_lo, s15
.LBB1_84:                               ;   in Loop: Header=BB1_30 Depth=1
	s_or_b32 exec_lo, exec_lo, s14
.LBB1_85:                               ;   in Loop: Header=BB1_30 Depth=1
	s_or_b32 exec_lo, exec_lo, s5
	s_clause 0x1
	global_load_dwordx2 v[30:31], v3, s[6:7] offset:40
	global_load_dwordx4 v[22:25], v3, s[6:7]
	v_readfirstlane_b32 s14, v26
	v_readfirstlane_b32 s15, v27
	s_mov_b32 s5, exec_lo
	s_waitcnt vmcnt(1)
	v_readfirstlane_b32 s16, v30
	v_readfirstlane_b32 s17, v31
	s_and_b64 s[16:17], s[14:15], s[16:17]
	s_mul_i32 s19, s17, 24
	s_mul_hi_u32 s20, s16, 24
	s_mul_i32 s21, s16, 24
	s_add_i32 s20, s20, s19
	s_waitcnt vmcnt(0)
	v_add_co_u32 v26, vcc_lo, v22, s21
	v_add_co_ci_u32_e32 v27, vcc_lo, s20, v23, vcc_lo
	s_and_saveexec_b32 s19, s4
	s_cbranch_execz .LBB1_87
; %bb.86:                               ;   in Loop: Header=BB1_30 Depth=1
	v_mov_b32_e32 v2, s5
	global_store_dwordx4 v[26:27], v[2:5], off offset:8
.LBB1_87:                               ;   in Loop: Header=BB1_30 Depth=1
	s_or_b32 exec_lo, exec_lo, s19
	s_lshl_b64 s[16:17], s[16:17], 12
	v_or_b32_e32 v2, 2, v6
	v_add_co_u32 v24, vcc_lo, v24, s16
	v_add_co_ci_u32_e32 v25, vcc_lo, s17, v25, vcc_lo
	v_cmp_gt_u64_e64 vcc_lo, s[10:11], 56
	s_lshl_b32 s5, s12, 2
	v_readfirstlane_b32 s16, v24
	s_add_i32 s5, s5, 28
	v_readfirstlane_b32 s17, v25
	s_and_b32 s5, s5, 0x1e0
	v_cndmask_b32_e32 v2, v2, v6, vcc_lo
	v_and_or_b32 v6, 0xffffff1f, v2, s5
	global_store_dwordx4 v29, v[10:13], s[16:17] offset:16
	global_store_dwordx4 v29, v[6:9], s[16:17]
	global_store_dwordx4 v29, v[14:17], s[16:17] offset:32
	global_store_dwordx4 v29, v[18:21], s[16:17] offset:48
	s_and_saveexec_b32 s5, s4
	s_cbranch_execz .LBB1_95
; %bb.88:                               ;   in Loop: Header=BB1_30 Depth=1
	s_clause 0x1
	global_load_dwordx2 v[14:15], v3, s[6:7] offset:32 glc dlc
	global_load_dwordx2 v[6:7], v3, s[6:7] offset:40
	v_mov_b32_e32 v12, s14
	v_mov_b32_e32 v13, s15
	s_waitcnt vmcnt(0)
	v_readfirstlane_b32 s16, v6
	v_readfirstlane_b32 s17, v7
	s_and_b64 s[16:17], s[16:17], s[14:15]
	s_mul_i32 s17, s17, 24
	s_mul_hi_u32 s19, s16, 24
	s_mul_i32 s16, s16, 24
	s_add_i32 s19, s19, s17
	v_add_co_u32 v10, vcc_lo, v22, s16
	v_add_co_ci_u32_e32 v11, vcc_lo, s19, v23, vcc_lo
	s_mov_b32 s16, exec_lo
	global_store_dwordx2 v[10:11], v[14:15], off
	s_waitcnt_vscnt null, 0x0
	global_atomic_cmpswap_x2 v[8:9], v3, v[12:15], s[6:7] offset:32 glc
	s_waitcnt vmcnt(0)
	v_cmpx_ne_u64_e64 v[8:9], v[14:15]
	s_cbranch_execz .LBB1_91
; %bb.89:                               ;   in Loop: Header=BB1_30 Depth=1
	s_mov_b32 s17, 0
.LBB1_90:                               ;   Parent Loop BB1_30 Depth=1
                                        ; =>  This Inner Loop Header: Depth=2
	v_mov_b32_e32 v6, s14
	v_mov_b32_e32 v7, s15
	s_sleep 1
	global_store_dwordx2 v[10:11], v[8:9], off
	s_waitcnt_vscnt null, 0x0
	global_atomic_cmpswap_x2 v[6:7], v3, v[6:9], s[6:7] offset:32 glc
	s_waitcnt vmcnt(0)
	v_cmp_eq_u64_e32 vcc_lo, v[6:7], v[8:9]
	v_mov_b32_e32 v9, v7
	v_mov_b32_e32 v8, v6
	s_or_b32 s17, vcc_lo, s17
	s_andn2_b32 exec_lo, exec_lo, s17
	s_cbranch_execnz .LBB1_90
.LBB1_91:                               ;   in Loop: Header=BB1_30 Depth=1
	s_or_b32 exec_lo, exec_lo, s16
	global_load_dwordx2 v[6:7], v3, s[6:7] offset:16
	s_mov_b32 s17, exec_lo
	s_mov_b32 s16, exec_lo
	v_mbcnt_lo_u32_b32 v2, s17, 0
	v_cmpx_eq_u32_e32 0, v2
	s_cbranch_execz .LBB1_93
; %bb.92:                               ;   in Loop: Header=BB1_30 Depth=1
	s_bcnt1_i32_b32 s17, s17
	v_mov_b32_e32 v2, s17
	s_waitcnt vmcnt(0)
	global_atomic_add_x2 v[6:7], v[2:3], off offset:8
.LBB1_93:                               ;   in Loop: Header=BB1_30 Depth=1
	s_or_b32 exec_lo, exec_lo, s16
	s_waitcnt vmcnt(0)
	global_load_dwordx2 v[8:9], v[6:7], off offset:16
	s_waitcnt vmcnt(0)
	v_cmp_eq_u64_e32 vcc_lo, 0, v[8:9]
	s_cbranch_vccnz .LBB1_95
; %bb.94:                               ;   in Loop: Header=BB1_30 Depth=1
	global_load_dword v2, v[6:7], off offset:24
	s_waitcnt vmcnt(0)
	v_and_b32_e32 v6, 0x7fffff, v2
	s_waitcnt_vscnt null, 0x0
	global_store_dwordx2 v[8:9], v[2:3], off
	v_readfirstlane_b32 m0, v6
	s_sendmsg sendmsg(MSG_INTERRUPT)
.LBB1_95:                               ;   in Loop: Header=BB1_30 Depth=1
	s_or_b32 exec_lo, exec_lo, s5
	v_add_co_u32 v6, vcc_lo, v24, v29
	v_add_co_ci_u32_e32 v7, vcc_lo, 0, v25, vcc_lo
	s_branch .LBB1_99
	.p2align	6
.LBB1_96:                               ;   in Loop: Header=BB1_99 Depth=2
	s_or_b32 exec_lo, exec_lo, s5
	v_readfirstlane_b32 s5, v2
	s_cmp_eq_u32 s5, 0
	s_cbranch_scc1 .LBB1_98
; %bb.97:                               ;   in Loop: Header=BB1_99 Depth=2
	s_sleep 1
	s_cbranch_execnz .LBB1_99
	s_branch .LBB1_101
	.p2align	6
.LBB1_98:                               ;   in Loop: Header=BB1_30 Depth=1
	s_branch .LBB1_101
.LBB1_99:                               ;   Parent Loop BB1_30 Depth=1
                                        ; =>  This Inner Loop Header: Depth=2
	v_mov_b32_e32 v2, 1
	s_and_saveexec_b32 s5, s4
	s_cbranch_execz .LBB1_96
; %bb.100:                              ;   in Loop: Header=BB1_99 Depth=2
	global_load_dword v2, v[26:27], off offset:20 glc dlc
	s_waitcnt vmcnt(0)
	buffer_gl1_inv
	buffer_gl0_inv
	v_and_b32_e32 v2, 1, v2
	s_branch .LBB1_96
.LBB1_101:                              ;   in Loop: Header=BB1_30 Depth=1
	global_load_dwordx4 v[6:9], v[6:7], off
	s_and_saveexec_b32 s5, s4
	s_cbranch_execz .LBB1_29
; %bb.102:                              ;   in Loop: Header=BB1_30 Depth=1
	s_clause 0x2
	global_load_dwordx2 v[10:11], v3, s[6:7] offset:40
	global_load_dwordx2 v[14:15], v3, s[6:7] offset:24 glc dlc
	global_load_dwordx2 v[12:13], v3, s[6:7]
	s_waitcnt vmcnt(2)
	v_add_co_u32 v2, vcc_lo, v10, 1
	v_add_co_ci_u32_e32 v16, vcc_lo, 0, v11, vcc_lo
	v_add_co_u32 v8, vcc_lo, v2, s14
	v_add_co_ci_u32_e32 v9, vcc_lo, s15, v16, vcc_lo
	v_cmp_eq_u64_e32 vcc_lo, 0, v[8:9]
	v_cndmask_b32_e32 v9, v9, v16, vcc_lo
	v_cndmask_b32_e32 v8, v8, v2, vcc_lo
	v_and_b32_e32 v2, v9, v11
	v_and_b32_e32 v10, v8, v10
	v_mul_lo_u32 v2, v2, 24
	v_mul_hi_u32 v11, v10, 24
	v_mul_lo_u32 v10, v10, 24
	v_add_nc_u32_e32 v2, v11, v2
	s_waitcnt vmcnt(0)
	v_add_co_u32 v12, vcc_lo, v12, v10
	v_mov_b32_e32 v10, v14
	v_mov_b32_e32 v11, v15
	v_add_co_ci_u32_e32 v13, vcc_lo, v13, v2, vcc_lo
	global_store_dwordx2 v[12:13], v[14:15], off
	s_waitcnt_vscnt null, 0x0
	global_atomic_cmpswap_x2 v[10:11], v3, v[8:11], s[6:7] offset:24 glc
	s_waitcnt vmcnt(0)
	v_cmp_ne_u64_e32 vcc_lo, v[10:11], v[14:15]
	s_and_b32 exec_lo, exec_lo, vcc_lo
	s_cbranch_execz .LBB1_29
; %bb.103:                              ;   in Loop: Header=BB1_30 Depth=1
	s_mov_b32 s4, 0
.LBB1_104:                              ;   Parent Loop BB1_30 Depth=1
                                        ; =>  This Inner Loop Header: Depth=2
	s_sleep 1
	global_store_dwordx2 v[12:13], v[10:11], off
	s_waitcnt_vscnt null, 0x0
	global_atomic_cmpswap_x2 v[14:15], v3, v[8:11], s[6:7] offset:24 glc
	s_waitcnt vmcnt(0)
	v_cmp_eq_u64_e32 vcc_lo, v[14:15], v[10:11]
	v_mov_b32_e32 v10, v14
	v_mov_b32_e32 v11, v15
	s_or_b32 s4, vcc_lo, s4
	s_andn2_b32 exec_lo, exec_lo, s4
	s_cbranch_execnz .LBB1_104
	s_branch .LBB1_29
.LBB1_105:
.LBB1_106:
	s_andn2_saveexec_b32 s18, s18
	s_cbranch_execz .LBB1_263
.LBB1_107:
	v_readfirstlane_b32 s4, v28
	s_waitcnt vmcnt(0)
	v_mov_b32_e32 v6, 0
	v_mov_b32_e32 v7, 0
	v_cmp_eq_u32_e64 s4, s4, v28
	s_and_saveexec_b32 s5, s4
	s_cbranch_execz .LBB1_113
; %bb.108:
	v_mov_b32_e32 v0, 0
	s_mov_b32 s8, exec_lo
	s_waitcnt lgkmcnt(0)
	global_load_dwordx2 v[3:4], v0, s[6:7] offset:24 glc dlc
	s_waitcnt vmcnt(0)
	buffer_gl1_inv
	buffer_gl0_inv
	s_clause 0x1
	global_load_dwordx2 v[1:2], v0, s[6:7] offset:40
	global_load_dwordx2 v[5:6], v0, s[6:7]
	s_waitcnt vmcnt(1)
	v_and_b32_e32 v2, v2, v4
	v_and_b32_e32 v1, v1, v3
	v_mul_lo_u32 v2, v2, 24
	v_mul_hi_u32 v7, v1, 24
	v_mul_lo_u32 v1, v1, 24
	v_add_nc_u32_e32 v2, v7, v2
	s_waitcnt vmcnt(0)
	v_add_co_u32 v1, vcc_lo, v5, v1
	v_add_co_ci_u32_e32 v2, vcc_lo, v6, v2, vcc_lo
	global_load_dwordx2 v[1:2], v[1:2], off glc dlc
	s_waitcnt vmcnt(0)
	global_atomic_cmpswap_x2 v[6:7], v0, v[1:4], s[6:7] offset:24 glc
	s_waitcnt vmcnt(0)
	buffer_gl1_inv
	buffer_gl0_inv
	v_cmpx_ne_u64_e64 v[6:7], v[3:4]
	s_cbranch_execz .LBB1_112
; %bb.109:
	s_mov_b32 s9, 0
	.p2align	6
.LBB1_110:                              ; =>This Inner Loop Header: Depth=1
	s_sleep 1
	s_clause 0x1
	global_load_dwordx2 v[1:2], v0, s[6:7] offset:40
	global_load_dwordx2 v[8:9], v0, s[6:7]
	v_mov_b32_e32 v3, v6
	v_mov_b32_e32 v4, v7
	s_waitcnt vmcnt(1)
	v_and_b32_e32 v1, v1, v3
	v_and_b32_e32 v2, v2, v4
	s_waitcnt vmcnt(0)
	v_mad_u64_u32 v[5:6], null, v1, 24, v[8:9]
	v_mov_b32_e32 v1, v6
	v_mad_u64_u32 v[1:2], null, v2, 24, v[1:2]
	v_mov_b32_e32 v6, v1
	global_load_dwordx2 v[1:2], v[5:6], off glc dlc
	s_waitcnt vmcnt(0)
	global_atomic_cmpswap_x2 v[6:7], v0, v[1:4], s[6:7] offset:24 glc
	s_waitcnt vmcnt(0)
	buffer_gl1_inv
	buffer_gl0_inv
	v_cmp_eq_u64_e32 vcc_lo, v[6:7], v[3:4]
	s_or_b32 s9, vcc_lo, s9
	s_andn2_b32 exec_lo, exec_lo, s9
	s_cbranch_execnz .LBB1_110
; %bb.111:
	s_or_b32 exec_lo, exec_lo, s9
.LBB1_112:
	s_or_b32 exec_lo, exec_lo, s8
.LBB1_113:
	s_or_b32 exec_lo, exec_lo, s5
	v_mov_b32_e32 v5, 0
	v_readfirstlane_b32 s8, v6
	v_readfirstlane_b32 s9, v7
	s_mov_b32 s5, exec_lo
	s_waitcnt lgkmcnt(0)
	s_clause 0x1
	global_load_dwordx2 v[8:9], v5, s[6:7] offset:40
	global_load_dwordx4 v[0:3], v5, s[6:7]
	s_waitcnt vmcnt(1)
	v_readfirstlane_b32 s10, v8
	v_readfirstlane_b32 s11, v9
	s_and_b64 s[10:11], s[8:9], s[10:11]
	s_mul_i32 s12, s11, 24
	s_mul_hi_u32 s13, s10, 24
	s_mul_i32 s14, s10, 24
	s_add_i32 s13, s13, s12
	s_waitcnt vmcnt(0)
	v_add_co_u32 v8, vcc_lo, v0, s14
	v_add_co_ci_u32_e32 v9, vcc_lo, s13, v1, vcc_lo
	s_and_saveexec_b32 s12, s4
	s_cbranch_execz .LBB1_115
; %bb.114:
	v_mov_b32_e32 v4, s5
	v_mov_b32_e32 v6, 2
	;; [unrolled: 1-line block ×3, first 2 shown]
	global_store_dwordx4 v[8:9], v[4:7], off offset:8
.LBB1_115:
	s_or_b32 exec_lo, exec_lo, s12
	s_lshl_b64 s[10:11], s[10:11], 12
	v_lshlrev_b32_e32 v29, 6, v28
	v_add_co_u32 v2, vcc_lo, v2, s10
	v_add_co_ci_u32_e32 v3, vcc_lo, s11, v3, vcc_lo
	s_mov_b32 s12, 0
	v_add_co_u32 v10, vcc_lo, v2, v29
	s_mov_b32 s13, s12
	s_mov_b32 s14, s12
	s_mov_b32 s15, s12
	v_mov_b32_e32 v4, 33
	v_mov_b32_e32 v6, v5
	;; [unrolled: 1-line block ×3, first 2 shown]
	v_readfirstlane_b32 s10, v2
	v_readfirstlane_b32 s11, v3
	v_mov_b32_e32 v12, s12
	v_add_co_ci_u32_e32 v11, vcc_lo, 0, v3, vcc_lo
	v_mov_b32_e32 v13, s13
	v_mov_b32_e32 v14, s14
	;; [unrolled: 1-line block ×3, first 2 shown]
	global_store_dwordx4 v29, v[4:7], s[10:11]
	global_store_dwordx4 v29, v[12:15], s[10:11] offset:16
	global_store_dwordx4 v29, v[12:15], s[10:11] offset:32
	;; [unrolled: 1-line block ×3, first 2 shown]
	s_and_saveexec_b32 s5, s4
	s_cbranch_execz .LBB1_123
; %bb.116:
	v_mov_b32_e32 v6, 0
	v_mov_b32_e32 v12, s8
	;; [unrolled: 1-line block ×3, first 2 shown]
	s_mov_b32 s10, exec_lo
	s_clause 0x1
	global_load_dwordx2 v[14:15], v6, s[6:7] offset:32 glc dlc
	global_load_dwordx2 v[2:3], v6, s[6:7] offset:40
	s_waitcnt vmcnt(0)
	v_and_b32_e32 v3, s9, v3
	v_and_b32_e32 v2, s8, v2
	v_mul_lo_u32 v3, v3, 24
	v_mul_hi_u32 v4, v2, 24
	v_mul_lo_u32 v2, v2, 24
	v_add_nc_u32_e32 v3, v4, v3
	v_add_co_u32 v4, vcc_lo, v0, v2
	v_add_co_ci_u32_e32 v5, vcc_lo, v1, v3, vcc_lo
	global_store_dwordx2 v[4:5], v[14:15], off
	s_waitcnt_vscnt null, 0x0
	global_atomic_cmpswap_x2 v[2:3], v6, v[12:15], s[6:7] offset:32 glc
	s_waitcnt vmcnt(0)
	v_cmpx_ne_u64_e64 v[2:3], v[14:15]
	s_cbranch_execz .LBB1_119
; %bb.117:
	s_mov_b32 s11, 0
.LBB1_118:                              ; =>This Inner Loop Header: Depth=1
	v_mov_b32_e32 v0, s8
	v_mov_b32_e32 v1, s9
	s_sleep 1
	global_store_dwordx2 v[4:5], v[2:3], off
	s_waitcnt_vscnt null, 0x0
	global_atomic_cmpswap_x2 v[0:1], v6, v[0:3], s[6:7] offset:32 glc
	s_waitcnt vmcnt(0)
	v_cmp_eq_u64_e32 vcc_lo, v[0:1], v[2:3]
	v_mov_b32_e32 v3, v1
	v_mov_b32_e32 v2, v0
	s_or_b32 s11, vcc_lo, s11
	s_andn2_b32 exec_lo, exec_lo, s11
	s_cbranch_execnz .LBB1_118
.LBB1_119:
	s_or_b32 exec_lo, exec_lo, s10
	v_mov_b32_e32 v3, 0
	s_mov_b32 s11, exec_lo
	s_mov_b32 s10, exec_lo
	v_mbcnt_lo_u32_b32 v2, s11, 0
	global_load_dwordx2 v[0:1], v3, s[6:7] offset:16
	v_cmpx_eq_u32_e32 0, v2
	s_cbranch_execz .LBB1_121
; %bb.120:
	s_bcnt1_i32_b32 s11, s11
	v_mov_b32_e32 v2, s11
	s_waitcnt vmcnt(0)
	global_atomic_add_x2 v[0:1], v[2:3], off offset:8
.LBB1_121:
	s_or_b32 exec_lo, exec_lo, s10
	s_waitcnt vmcnt(0)
	global_load_dwordx2 v[2:3], v[0:1], off offset:16
	s_waitcnt vmcnt(0)
	v_cmp_eq_u64_e32 vcc_lo, 0, v[2:3]
	s_cbranch_vccnz .LBB1_123
; %bb.122:
	global_load_dword v0, v[0:1], off offset:24
	v_mov_b32_e32 v1, 0
	s_waitcnt vmcnt(0)
	v_and_b32_e32 v4, 0x7fffff, v0
	s_waitcnt_vscnt null, 0x0
	global_store_dwordx2 v[2:3], v[0:1], off
	v_readfirstlane_b32 m0, v4
	s_sendmsg sendmsg(MSG_INTERRUPT)
.LBB1_123:
	s_or_b32 exec_lo, exec_lo, s5
	s_branch .LBB1_127
	.p2align	6
.LBB1_124:                              ;   in Loop: Header=BB1_127 Depth=1
	s_or_b32 exec_lo, exec_lo, s5
	v_readfirstlane_b32 s5, v0
	s_cmp_eq_u32 s5, 0
	s_cbranch_scc1 .LBB1_126
; %bb.125:                              ;   in Loop: Header=BB1_127 Depth=1
	s_sleep 1
	s_cbranch_execnz .LBB1_127
	s_branch .LBB1_129
	.p2align	6
.LBB1_126:
	s_branch .LBB1_129
.LBB1_127:                              ; =>This Inner Loop Header: Depth=1
	v_mov_b32_e32 v0, 1
	s_and_saveexec_b32 s5, s4
	s_cbranch_execz .LBB1_124
; %bb.128:                              ;   in Loop: Header=BB1_127 Depth=1
	global_load_dword v0, v[8:9], off offset:20 glc dlc
	s_waitcnt vmcnt(0)
	buffer_gl1_inv
	buffer_gl0_inv
	v_and_b32_e32 v0, 1, v0
	s_branch .LBB1_124
.LBB1_129:
	global_load_dwordx2 v[0:1], v[10:11], off
	s_and_saveexec_b32 s5, s4
	s_cbranch_execz .LBB1_133
; %bb.130:
	v_mov_b32_e32 v8, 0
	s_clause 0x2
	global_load_dwordx2 v[4:5], v8, s[6:7] offset:40
	global_load_dwordx2 v[9:10], v8, s[6:7] offset:24 glc dlc
	global_load_dwordx2 v[6:7], v8, s[6:7]
	s_waitcnt vmcnt(2)
	v_add_co_u32 v11, vcc_lo, v4, 1
	v_add_co_ci_u32_e32 v12, vcc_lo, 0, v5, vcc_lo
	v_add_co_u32 v2, vcc_lo, v11, s8
	v_add_co_ci_u32_e32 v3, vcc_lo, s9, v12, vcc_lo
	v_cmp_eq_u64_e32 vcc_lo, 0, v[2:3]
	v_cndmask_b32_e32 v3, v3, v12, vcc_lo
	v_cndmask_b32_e32 v2, v2, v11, vcc_lo
	v_and_b32_e32 v5, v3, v5
	v_and_b32_e32 v4, v2, v4
	v_mul_lo_u32 v5, v5, 24
	v_mul_hi_u32 v11, v4, 24
	v_mul_lo_u32 v4, v4, 24
	v_add_nc_u32_e32 v5, v11, v5
	s_waitcnt vmcnt(0)
	v_add_co_u32 v6, vcc_lo, v6, v4
	v_mov_b32_e32 v4, v9
	v_add_co_ci_u32_e32 v7, vcc_lo, v7, v5, vcc_lo
	v_mov_b32_e32 v5, v10
	global_store_dwordx2 v[6:7], v[9:10], off
	s_waitcnt_vscnt null, 0x0
	global_atomic_cmpswap_x2 v[4:5], v8, v[2:5], s[6:7] offset:24 glc
	s_waitcnt vmcnt(0)
	v_cmp_ne_u64_e32 vcc_lo, v[4:5], v[9:10]
	s_and_b32 exec_lo, exec_lo, vcc_lo
	s_cbranch_execz .LBB1_133
; %bb.131:
	s_mov_b32 s4, 0
.LBB1_132:                              ; =>This Inner Loop Header: Depth=1
	s_sleep 1
	global_store_dwordx2 v[6:7], v[4:5], off
	s_waitcnt_vscnt null, 0x0
	global_atomic_cmpswap_x2 v[9:10], v8, v[2:5], s[6:7] offset:24 glc
	s_waitcnt vmcnt(0)
	v_cmp_eq_u64_e32 vcc_lo, v[9:10], v[4:5]
	v_mov_b32_e32 v4, v9
	v_mov_b32_e32 v5, v10
	s_or_b32 s4, vcc_lo, s4
	s_andn2_b32 exec_lo, exec_lo, s4
	s_cbranch_execnz .LBB1_132
.LBB1_133:
	s_or_b32 exec_lo, exec_lo, s5
	s_getpc_b64 s[8:9]
	s_add_u32 s8, s8, .str.11@rel32@lo+4
	s_addc_u32 s9, s9, .str.11@rel32@hi+12
	s_cmp_lg_u64 s[8:9], 0
	s_cbranch_scc0 .LBB1_240
; %bb.134:
	s_waitcnt vmcnt(0)
	v_and_b32_e32 v6, -3, v0
	v_mov_b32_e32 v7, v1
	v_mov_b32_e32 v3, 0
	;; [unrolled: 1-line block ×4, first 2 shown]
	s_mov_b64 s[10:11], 5
	s_branch .LBB1_136
.LBB1_135:                              ;   in Loop: Header=BB1_136 Depth=1
	s_or_b32 exec_lo, exec_lo, s5
	s_sub_u32 s10, s10, s12
	s_subb_u32 s11, s11, s13
	s_add_u32 s8, s8, s12
	s_addc_u32 s9, s9, s13
	s_cmp_eq_u64 s[10:11], 0
	s_cbranch_scc1 .LBB1_211
.LBB1_136:                              ; =>This Loop Header: Depth=1
                                        ;     Child Loop BB1_145 Depth 2
                                        ;     Child Loop BB1_141 Depth 2
	;; [unrolled: 1-line block ×11, first 2 shown]
	v_cmp_lt_u64_e64 s4, s[10:11], 56
	v_cmp_gt_u64_e64 s5, s[10:11], 7
                                        ; implicit-def: $sgpr19
	s_and_b32 s4, s4, exec_lo
	s_cselect_b32 s13, s11, 0
	s_cselect_b32 s12, s10, 56
	s_and_b32 vcc_lo, exec_lo, s5
	s_mov_b32 s4, -1
	s_cbranch_vccz .LBB1_143
; %bb.137:                              ;   in Loop: Header=BB1_136 Depth=1
	s_andn2_b32 vcc_lo, exec_lo, s4
	s_mov_b64 s[4:5], s[8:9]
	s_cbranch_vccz .LBB1_147
.LBB1_138:                              ;   in Loop: Header=BB1_136 Depth=1
	s_cmp_gt_u32 s19, 7
	s_cbranch_scc1 .LBB1_148
.LBB1_139:                              ;   in Loop: Header=BB1_136 Depth=1
	v_mov_b32_e32 v10, 0
	v_mov_b32_e32 v11, 0
	s_cmp_eq_u32 s19, 0
	s_cbranch_scc1 .LBB1_142
; %bb.140:                              ;   in Loop: Header=BB1_136 Depth=1
	s_mov_b64 s[14:15], 0
	s_mov_b64 s[16:17], 0
.LBB1_141:                              ;   Parent Loop BB1_136 Depth=1
                                        ; =>  This Inner Loop Header: Depth=2
	s_add_u32 s20, s4, s16
	s_addc_u32 s21, s5, s17
	s_add_u32 s16, s16, 1
	global_load_ubyte v2, v3, s[20:21]
	s_addc_u32 s17, s17, 0
	s_waitcnt vmcnt(0)
	v_and_b32_e32 v2, 0xffff, v2
	v_lshlrev_b64 v[12:13], s14, v[2:3]
	s_add_u32 s14, s14, 8
	s_addc_u32 s15, s15, 0
	s_cmp_lg_u32 s19, s16
	v_or_b32_e32 v10, v12, v10
	v_or_b32_e32 v11, v13, v11
	s_cbranch_scc1 .LBB1_141
.LBB1_142:                              ;   in Loop: Header=BB1_136 Depth=1
	s_mov_b32 s20, 0
	s_cbranch_execz .LBB1_149
	s_branch .LBB1_150
.LBB1_143:                              ;   in Loop: Header=BB1_136 Depth=1
	s_waitcnt vmcnt(0)
	v_mov_b32_e32 v8, 0
	v_mov_b32_e32 v9, 0
	s_cmp_eq_u64 s[10:11], 0
	s_mov_b64 s[4:5], 0
	s_cbranch_scc1 .LBB1_146
; %bb.144:                              ;   in Loop: Header=BB1_136 Depth=1
	v_mov_b32_e32 v8, 0
	v_mov_b32_e32 v9, 0
	s_lshl_b64 s[14:15], s[12:13], 3
	s_mov_b64 s[16:17], s[8:9]
.LBB1_145:                              ;   Parent Loop BB1_136 Depth=1
                                        ; =>  This Inner Loop Header: Depth=2
	global_load_ubyte v2, v3, s[16:17]
	s_waitcnt vmcnt(0)
	v_and_b32_e32 v2, 0xffff, v2
	v_lshlrev_b64 v[10:11], s4, v[2:3]
	s_add_u32 s4, s4, 8
	s_addc_u32 s5, s5, 0
	s_add_u32 s16, s16, 1
	s_addc_u32 s17, s17, 0
	s_cmp_lg_u32 s14, s4
	v_or_b32_e32 v8, v10, v8
	v_or_b32_e32 v9, v11, v9
	s_cbranch_scc1 .LBB1_145
.LBB1_146:                              ;   in Loop: Header=BB1_136 Depth=1
	s_mov_b32 s19, 0
	s_mov_b64 s[4:5], s[8:9]
	s_cbranch_execnz .LBB1_138
.LBB1_147:                              ;   in Loop: Header=BB1_136 Depth=1
	global_load_dwordx2 v[8:9], v3, s[8:9]
	s_add_i32 s19, s12, -8
	s_add_u32 s4, s8, 8
	s_addc_u32 s5, s9, 0
	s_cmp_gt_u32 s19, 7
	s_cbranch_scc0 .LBB1_139
.LBB1_148:                              ;   in Loop: Header=BB1_136 Depth=1
                                        ; implicit-def: $vgpr10_vgpr11
                                        ; implicit-def: $sgpr20
.LBB1_149:                              ;   in Loop: Header=BB1_136 Depth=1
	global_load_dwordx2 v[10:11], v3, s[4:5]
	s_add_i32 s20, s19, -8
	s_add_u32 s4, s4, 8
	s_addc_u32 s5, s5, 0
.LBB1_150:                              ;   in Loop: Header=BB1_136 Depth=1
	s_cmp_gt_u32 s20, 7
	s_cbranch_scc1 .LBB1_155
; %bb.151:                              ;   in Loop: Header=BB1_136 Depth=1
	v_mov_b32_e32 v12, 0
	v_mov_b32_e32 v13, 0
	s_cmp_eq_u32 s20, 0
	s_cbranch_scc1 .LBB1_154
; %bb.152:                              ;   in Loop: Header=BB1_136 Depth=1
	s_mov_b64 s[14:15], 0
	s_mov_b64 s[16:17], 0
.LBB1_153:                              ;   Parent Loop BB1_136 Depth=1
                                        ; =>  This Inner Loop Header: Depth=2
	s_add_u32 s22, s4, s16
	s_addc_u32 s23, s5, s17
	s_add_u32 s16, s16, 1
	global_load_ubyte v2, v3, s[22:23]
	s_addc_u32 s17, s17, 0
	s_waitcnt vmcnt(0)
	v_and_b32_e32 v2, 0xffff, v2
	v_lshlrev_b64 v[14:15], s14, v[2:3]
	s_add_u32 s14, s14, 8
	s_addc_u32 s15, s15, 0
	s_cmp_lg_u32 s20, s16
	v_or_b32_e32 v12, v14, v12
	v_or_b32_e32 v13, v15, v13
	s_cbranch_scc1 .LBB1_153
.LBB1_154:                              ;   in Loop: Header=BB1_136 Depth=1
	s_mov_b32 s19, 0
	s_cbranch_execz .LBB1_156
	s_branch .LBB1_157
.LBB1_155:                              ;   in Loop: Header=BB1_136 Depth=1
                                        ; implicit-def: $sgpr19
.LBB1_156:                              ;   in Loop: Header=BB1_136 Depth=1
	global_load_dwordx2 v[12:13], v3, s[4:5]
	s_add_i32 s19, s20, -8
	s_add_u32 s4, s4, 8
	s_addc_u32 s5, s5, 0
.LBB1_157:                              ;   in Loop: Header=BB1_136 Depth=1
	s_cmp_gt_u32 s19, 7
	s_cbranch_scc1 .LBB1_162
; %bb.158:                              ;   in Loop: Header=BB1_136 Depth=1
	v_mov_b32_e32 v14, 0
	v_mov_b32_e32 v15, 0
	s_cmp_eq_u32 s19, 0
	s_cbranch_scc1 .LBB1_161
; %bb.159:                              ;   in Loop: Header=BB1_136 Depth=1
	s_mov_b64 s[14:15], 0
	s_mov_b64 s[16:17], 0
.LBB1_160:                              ;   Parent Loop BB1_136 Depth=1
                                        ; =>  This Inner Loop Header: Depth=2
	s_add_u32 s20, s4, s16
	s_addc_u32 s21, s5, s17
	s_add_u32 s16, s16, 1
	global_load_ubyte v2, v3, s[20:21]
	s_addc_u32 s17, s17, 0
	s_waitcnt vmcnt(0)
	v_and_b32_e32 v2, 0xffff, v2
	v_lshlrev_b64 v[16:17], s14, v[2:3]
	s_add_u32 s14, s14, 8
	s_addc_u32 s15, s15, 0
	s_cmp_lg_u32 s19, s16
	v_or_b32_e32 v14, v16, v14
	v_or_b32_e32 v15, v17, v15
	s_cbranch_scc1 .LBB1_160
.LBB1_161:                              ;   in Loop: Header=BB1_136 Depth=1
	s_mov_b32 s20, 0
	s_cbranch_execz .LBB1_163
	s_branch .LBB1_164
.LBB1_162:                              ;   in Loop: Header=BB1_136 Depth=1
                                        ; implicit-def: $vgpr14_vgpr15
                                        ; implicit-def: $sgpr20
.LBB1_163:                              ;   in Loop: Header=BB1_136 Depth=1
	global_load_dwordx2 v[14:15], v3, s[4:5]
	s_add_i32 s20, s19, -8
	s_add_u32 s4, s4, 8
	s_addc_u32 s5, s5, 0
.LBB1_164:                              ;   in Loop: Header=BB1_136 Depth=1
	s_cmp_gt_u32 s20, 7
	s_cbranch_scc1 .LBB1_169
; %bb.165:                              ;   in Loop: Header=BB1_136 Depth=1
	v_mov_b32_e32 v16, 0
	v_mov_b32_e32 v17, 0
	s_cmp_eq_u32 s20, 0
	s_cbranch_scc1 .LBB1_168
; %bb.166:                              ;   in Loop: Header=BB1_136 Depth=1
	s_mov_b64 s[14:15], 0
	s_mov_b64 s[16:17], 0
.LBB1_167:                              ;   Parent Loop BB1_136 Depth=1
                                        ; =>  This Inner Loop Header: Depth=2
	s_add_u32 s22, s4, s16
	s_addc_u32 s23, s5, s17
	s_add_u32 s16, s16, 1
	global_load_ubyte v2, v3, s[22:23]
	s_addc_u32 s17, s17, 0
	s_waitcnt vmcnt(0)
	v_and_b32_e32 v2, 0xffff, v2
	v_lshlrev_b64 v[18:19], s14, v[2:3]
	s_add_u32 s14, s14, 8
	s_addc_u32 s15, s15, 0
	s_cmp_lg_u32 s20, s16
	v_or_b32_e32 v16, v18, v16
	v_or_b32_e32 v17, v19, v17
	s_cbranch_scc1 .LBB1_167
.LBB1_168:                              ;   in Loop: Header=BB1_136 Depth=1
	s_mov_b32 s19, 0
	s_cbranch_execz .LBB1_170
	s_branch .LBB1_171
.LBB1_169:                              ;   in Loop: Header=BB1_136 Depth=1
                                        ; implicit-def: $sgpr19
.LBB1_170:                              ;   in Loop: Header=BB1_136 Depth=1
	global_load_dwordx2 v[16:17], v3, s[4:5]
	s_add_i32 s19, s20, -8
	s_add_u32 s4, s4, 8
	s_addc_u32 s5, s5, 0
.LBB1_171:                              ;   in Loop: Header=BB1_136 Depth=1
	s_cmp_gt_u32 s19, 7
	s_cbranch_scc1 .LBB1_176
; %bb.172:                              ;   in Loop: Header=BB1_136 Depth=1
	v_mov_b32_e32 v18, 0
	v_mov_b32_e32 v19, 0
	s_cmp_eq_u32 s19, 0
	s_cbranch_scc1 .LBB1_175
; %bb.173:                              ;   in Loop: Header=BB1_136 Depth=1
	s_mov_b64 s[14:15], 0
	s_mov_b64 s[16:17], 0
.LBB1_174:                              ;   Parent Loop BB1_136 Depth=1
                                        ; =>  This Inner Loop Header: Depth=2
	s_add_u32 s20, s4, s16
	s_addc_u32 s21, s5, s17
	s_add_u32 s16, s16, 1
	global_load_ubyte v2, v3, s[20:21]
	s_addc_u32 s17, s17, 0
	s_waitcnt vmcnt(0)
	v_and_b32_e32 v2, 0xffff, v2
	v_lshlrev_b64 v[20:21], s14, v[2:3]
	s_add_u32 s14, s14, 8
	s_addc_u32 s15, s15, 0
	s_cmp_lg_u32 s19, s16
	v_or_b32_e32 v18, v20, v18
	v_or_b32_e32 v19, v21, v19
	s_cbranch_scc1 .LBB1_174
.LBB1_175:                              ;   in Loop: Header=BB1_136 Depth=1
	s_mov_b32 s20, 0
	s_cbranch_execz .LBB1_177
	s_branch .LBB1_178
.LBB1_176:                              ;   in Loop: Header=BB1_136 Depth=1
                                        ; implicit-def: $vgpr18_vgpr19
                                        ; implicit-def: $sgpr20
.LBB1_177:                              ;   in Loop: Header=BB1_136 Depth=1
	global_load_dwordx2 v[18:19], v3, s[4:5]
	s_add_i32 s20, s19, -8
	s_add_u32 s4, s4, 8
	s_addc_u32 s5, s5, 0
.LBB1_178:                              ;   in Loop: Header=BB1_136 Depth=1
	s_cmp_gt_u32 s20, 7
	s_cbranch_scc1 .LBB1_183
; %bb.179:                              ;   in Loop: Header=BB1_136 Depth=1
	v_mov_b32_e32 v20, 0
	v_mov_b32_e32 v21, 0
	s_cmp_eq_u32 s20, 0
	s_cbranch_scc1 .LBB1_182
; %bb.180:                              ;   in Loop: Header=BB1_136 Depth=1
	s_mov_b64 s[14:15], 0
	s_mov_b64 s[16:17], s[4:5]
.LBB1_181:                              ;   Parent Loop BB1_136 Depth=1
                                        ; =>  This Inner Loop Header: Depth=2
	global_load_ubyte v2, v3, s[16:17]
	s_add_i32 s20, s20, -1
	s_waitcnt vmcnt(0)
	v_and_b32_e32 v2, 0xffff, v2
	v_lshlrev_b64 v[22:23], s14, v[2:3]
	s_add_u32 s14, s14, 8
	s_addc_u32 s15, s15, 0
	s_add_u32 s16, s16, 1
	s_addc_u32 s17, s17, 0
	s_cmp_lg_u32 s20, 0
	v_or_b32_e32 v20, v22, v20
	v_or_b32_e32 v21, v23, v21
	s_cbranch_scc1 .LBB1_181
.LBB1_182:                              ;   in Loop: Header=BB1_136 Depth=1
	s_cbranch_execz .LBB1_184
	s_branch .LBB1_185
.LBB1_183:                              ;   in Loop: Header=BB1_136 Depth=1
.LBB1_184:                              ;   in Loop: Header=BB1_136 Depth=1
	global_load_dwordx2 v[20:21], v3, s[4:5]
.LBB1_185:                              ;   in Loop: Header=BB1_136 Depth=1
	v_readfirstlane_b32 s4, v28
	v_mov_b32_e32 v26, 0
	v_mov_b32_e32 v27, 0
	v_cmp_eq_u32_e64 s4, s4, v28
	s_and_saveexec_b32 s5, s4
	s_cbranch_execz .LBB1_191
; %bb.186:                              ;   in Loop: Header=BB1_136 Depth=1
	global_load_dwordx2 v[24:25], v3, s[6:7] offset:24 glc dlc
	s_waitcnt vmcnt(0)
	buffer_gl1_inv
	buffer_gl0_inv
	s_clause 0x1
	global_load_dwordx2 v[22:23], v3, s[6:7] offset:40
	global_load_dwordx2 v[26:27], v3, s[6:7]
	s_mov_b32 s14, exec_lo
	s_waitcnt vmcnt(1)
	v_and_b32_e32 v2, v23, v25
	v_and_b32_e32 v22, v22, v24
	v_mul_lo_u32 v2, v2, 24
	v_mul_hi_u32 v23, v22, 24
	v_mul_lo_u32 v22, v22, 24
	v_add_nc_u32_e32 v2, v23, v2
	s_waitcnt vmcnt(0)
	v_add_co_u32 v22, vcc_lo, v26, v22
	v_add_co_ci_u32_e32 v23, vcc_lo, v27, v2, vcc_lo
	global_load_dwordx2 v[22:23], v[22:23], off glc dlc
	s_waitcnt vmcnt(0)
	global_atomic_cmpswap_x2 v[26:27], v3, v[22:25], s[6:7] offset:24 glc
	s_waitcnt vmcnt(0)
	buffer_gl1_inv
	buffer_gl0_inv
	v_cmpx_ne_u64_e64 v[26:27], v[24:25]
	s_cbranch_execz .LBB1_190
; %bb.187:                              ;   in Loop: Header=BB1_136 Depth=1
	s_mov_b32 s15, 0
	.p2align	6
.LBB1_188:                              ;   Parent Loop BB1_136 Depth=1
                                        ; =>  This Inner Loop Header: Depth=2
	s_sleep 1
	s_clause 0x1
	global_load_dwordx2 v[22:23], v3, s[6:7] offset:40
	global_load_dwordx2 v[30:31], v3, s[6:7]
	v_mov_b32_e32 v24, v26
	v_mov_b32_e32 v25, v27
	s_waitcnt vmcnt(1)
	v_and_b32_e32 v2, v22, v24
	v_and_b32_e32 v22, v23, v25
	s_waitcnt vmcnt(0)
	v_mad_u64_u32 v[26:27], null, v2, 24, v[30:31]
	v_mov_b32_e32 v2, v27
	v_mad_u64_u32 v[22:23], null, v22, 24, v[2:3]
	v_mov_b32_e32 v27, v22
	global_load_dwordx2 v[22:23], v[26:27], off glc dlc
	s_waitcnt vmcnt(0)
	global_atomic_cmpswap_x2 v[26:27], v3, v[22:25], s[6:7] offset:24 glc
	s_waitcnt vmcnt(0)
	buffer_gl1_inv
	buffer_gl0_inv
	v_cmp_eq_u64_e32 vcc_lo, v[26:27], v[24:25]
	s_or_b32 s15, vcc_lo, s15
	s_andn2_b32 exec_lo, exec_lo, s15
	s_cbranch_execnz .LBB1_188
; %bb.189:                              ;   in Loop: Header=BB1_136 Depth=1
	s_or_b32 exec_lo, exec_lo, s15
.LBB1_190:                              ;   in Loop: Header=BB1_136 Depth=1
	s_or_b32 exec_lo, exec_lo, s14
.LBB1_191:                              ;   in Loop: Header=BB1_136 Depth=1
	s_or_b32 exec_lo, exec_lo, s5
	s_clause 0x1
	global_load_dwordx2 v[30:31], v3, s[6:7] offset:40
	global_load_dwordx4 v[22:25], v3, s[6:7]
	v_readfirstlane_b32 s14, v26
	v_readfirstlane_b32 s15, v27
	s_mov_b32 s5, exec_lo
	s_waitcnt vmcnt(1)
	v_readfirstlane_b32 s16, v30
	v_readfirstlane_b32 s17, v31
	s_and_b64 s[16:17], s[14:15], s[16:17]
	s_mul_i32 s19, s17, 24
	s_mul_hi_u32 s20, s16, 24
	s_mul_i32 s21, s16, 24
	s_add_i32 s20, s20, s19
	s_waitcnt vmcnt(0)
	v_add_co_u32 v26, vcc_lo, v22, s21
	v_add_co_ci_u32_e32 v27, vcc_lo, s20, v23, vcc_lo
	s_and_saveexec_b32 s19, s4
	s_cbranch_execz .LBB1_193
; %bb.192:                              ;   in Loop: Header=BB1_136 Depth=1
	v_mov_b32_e32 v2, s5
	global_store_dwordx4 v[26:27], v[2:5], off offset:8
.LBB1_193:                              ;   in Loop: Header=BB1_136 Depth=1
	s_or_b32 exec_lo, exec_lo, s19
	s_lshl_b64 s[16:17], s[16:17], 12
	v_or_b32_e32 v2, 2, v6
	v_add_co_u32 v24, vcc_lo, v24, s16
	v_add_co_ci_u32_e32 v25, vcc_lo, s17, v25, vcc_lo
	v_cmp_gt_u64_e64 vcc_lo, s[10:11], 56
	s_lshl_b32 s5, s12, 2
	v_readfirstlane_b32 s16, v24
	s_add_i32 s5, s5, 28
	v_readfirstlane_b32 s17, v25
	s_and_b32 s5, s5, 0x1e0
	v_cndmask_b32_e32 v2, v2, v6, vcc_lo
	v_and_or_b32 v6, 0xffffff1f, v2, s5
	global_store_dwordx4 v29, v[10:13], s[16:17] offset:16
	global_store_dwordx4 v29, v[6:9], s[16:17]
	global_store_dwordx4 v29, v[14:17], s[16:17] offset:32
	global_store_dwordx4 v29, v[18:21], s[16:17] offset:48
	s_and_saveexec_b32 s5, s4
	s_cbranch_execz .LBB1_201
; %bb.194:                              ;   in Loop: Header=BB1_136 Depth=1
	s_clause 0x1
	global_load_dwordx2 v[14:15], v3, s[6:7] offset:32 glc dlc
	global_load_dwordx2 v[6:7], v3, s[6:7] offset:40
	v_mov_b32_e32 v12, s14
	v_mov_b32_e32 v13, s15
	s_waitcnt vmcnt(0)
	v_readfirstlane_b32 s16, v6
	v_readfirstlane_b32 s17, v7
	s_and_b64 s[16:17], s[16:17], s[14:15]
	s_mul_i32 s17, s17, 24
	s_mul_hi_u32 s19, s16, 24
	s_mul_i32 s16, s16, 24
	s_add_i32 s19, s19, s17
	v_add_co_u32 v10, vcc_lo, v22, s16
	v_add_co_ci_u32_e32 v11, vcc_lo, s19, v23, vcc_lo
	s_mov_b32 s16, exec_lo
	global_store_dwordx2 v[10:11], v[14:15], off
	s_waitcnt_vscnt null, 0x0
	global_atomic_cmpswap_x2 v[8:9], v3, v[12:15], s[6:7] offset:32 glc
	s_waitcnt vmcnt(0)
	v_cmpx_ne_u64_e64 v[8:9], v[14:15]
	s_cbranch_execz .LBB1_197
; %bb.195:                              ;   in Loop: Header=BB1_136 Depth=1
	s_mov_b32 s17, 0
.LBB1_196:                              ;   Parent Loop BB1_136 Depth=1
                                        ; =>  This Inner Loop Header: Depth=2
	v_mov_b32_e32 v6, s14
	v_mov_b32_e32 v7, s15
	s_sleep 1
	global_store_dwordx2 v[10:11], v[8:9], off
	s_waitcnt_vscnt null, 0x0
	global_atomic_cmpswap_x2 v[6:7], v3, v[6:9], s[6:7] offset:32 glc
	s_waitcnt vmcnt(0)
	v_cmp_eq_u64_e32 vcc_lo, v[6:7], v[8:9]
	v_mov_b32_e32 v9, v7
	v_mov_b32_e32 v8, v6
	s_or_b32 s17, vcc_lo, s17
	s_andn2_b32 exec_lo, exec_lo, s17
	s_cbranch_execnz .LBB1_196
.LBB1_197:                              ;   in Loop: Header=BB1_136 Depth=1
	s_or_b32 exec_lo, exec_lo, s16
	global_load_dwordx2 v[6:7], v3, s[6:7] offset:16
	s_mov_b32 s17, exec_lo
	s_mov_b32 s16, exec_lo
	v_mbcnt_lo_u32_b32 v2, s17, 0
	v_cmpx_eq_u32_e32 0, v2
	s_cbranch_execz .LBB1_199
; %bb.198:                              ;   in Loop: Header=BB1_136 Depth=1
	s_bcnt1_i32_b32 s17, s17
	v_mov_b32_e32 v2, s17
	s_waitcnt vmcnt(0)
	global_atomic_add_x2 v[6:7], v[2:3], off offset:8
.LBB1_199:                              ;   in Loop: Header=BB1_136 Depth=1
	s_or_b32 exec_lo, exec_lo, s16
	s_waitcnt vmcnt(0)
	global_load_dwordx2 v[8:9], v[6:7], off offset:16
	s_waitcnt vmcnt(0)
	v_cmp_eq_u64_e32 vcc_lo, 0, v[8:9]
	s_cbranch_vccnz .LBB1_201
; %bb.200:                              ;   in Loop: Header=BB1_136 Depth=1
	global_load_dword v2, v[6:7], off offset:24
	s_waitcnt vmcnt(0)
	v_and_b32_e32 v6, 0x7fffff, v2
	s_waitcnt_vscnt null, 0x0
	global_store_dwordx2 v[8:9], v[2:3], off
	v_readfirstlane_b32 m0, v6
	s_sendmsg sendmsg(MSG_INTERRUPT)
.LBB1_201:                              ;   in Loop: Header=BB1_136 Depth=1
	s_or_b32 exec_lo, exec_lo, s5
	v_add_co_u32 v6, vcc_lo, v24, v29
	v_add_co_ci_u32_e32 v7, vcc_lo, 0, v25, vcc_lo
	s_branch .LBB1_205
	.p2align	6
.LBB1_202:                              ;   in Loop: Header=BB1_205 Depth=2
	s_or_b32 exec_lo, exec_lo, s5
	v_readfirstlane_b32 s5, v2
	s_cmp_eq_u32 s5, 0
	s_cbranch_scc1 .LBB1_204
; %bb.203:                              ;   in Loop: Header=BB1_205 Depth=2
	s_sleep 1
	s_cbranch_execnz .LBB1_205
	s_branch .LBB1_207
	.p2align	6
.LBB1_204:                              ;   in Loop: Header=BB1_136 Depth=1
	s_branch .LBB1_207
.LBB1_205:                              ;   Parent Loop BB1_136 Depth=1
                                        ; =>  This Inner Loop Header: Depth=2
	v_mov_b32_e32 v2, 1
	s_and_saveexec_b32 s5, s4
	s_cbranch_execz .LBB1_202
; %bb.206:                              ;   in Loop: Header=BB1_205 Depth=2
	global_load_dword v2, v[26:27], off offset:20 glc dlc
	s_waitcnt vmcnt(0)
	buffer_gl1_inv
	buffer_gl0_inv
	v_and_b32_e32 v2, 1, v2
	s_branch .LBB1_202
.LBB1_207:                              ;   in Loop: Header=BB1_136 Depth=1
	global_load_dwordx4 v[6:9], v[6:7], off
	s_and_saveexec_b32 s5, s4
	s_cbranch_execz .LBB1_135
; %bb.208:                              ;   in Loop: Header=BB1_136 Depth=1
	s_clause 0x2
	global_load_dwordx2 v[10:11], v3, s[6:7] offset:40
	global_load_dwordx2 v[14:15], v3, s[6:7] offset:24 glc dlc
	global_load_dwordx2 v[12:13], v3, s[6:7]
	s_waitcnt vmcnt(2)
	v_add_co_u32 v2, vcc_lo, v10, 1
	v_add_co_ci_u32_e32 v16, vcc_lo, 0, v11, vcc_lo
	v_add_co_u32 v8, vcc_lo, v2, s14
	v_add_co_ci_u32_e32 v9, vcc_lo, s15, v16, vcc_lo
	v_cmp_eq_u64_e32 vcc_lo, 0, v[8:9]
	v_cndmask_b32_e32 v9, v9, v16, vcc_lo
	v_cndmask_b32_e32 v8, v8, v2, vcc_lo
	v_and_b32_e32 v2, v9, v11
	v_and_b32_e32 v10, v8, v10
	v_mul_lo_u32 v2, v2, 24
	v_mul_hi_u32 v11, v10, 24
	v_mul_lo_u32 v10, v10, 24
	v_add_nc_u32_e32 v2, v11, v2
	s_waitcnt vmcnt(0)
	v_add_co_u32 v12, vcc_lo, v12, v10
	v_mov_b32_e32 v10, v14
	v_mov_b32_e32 v11, v15
	v_add_co_ci_u32_e32 v13, vcc_lo, v13, v2, vcc_lo
	global_store_dwordx2 v[12:13], v[14:15], off
	s_waitcnt_vscnt null, 0x0
	global_atomic_cmpswap_x2 v[10:11], v3, v[8:11], s[6:7] offset:24 glc
	s_waitcnt vmcnt(0)
	v_cmp_ne_u64_e32 vcc_lo, v[10:11], v[14:15]
	s_and_b32 exec_lo, exec_lo, vcc_lo
	s_cbranch_execz .LBB1_135
; %bb.209:                              ;   in Loop: Header=BB1_136 Depth=1
	s_mov_b32 s4, 0
.LBB1_210:                              ;   Parent Loop BB1_136 Depth=1
                                        ; =>  This Inner Loop Header: Depth=2
	s_sleep 1
	global_store_dwordx2 v[12:13], v[10:11], off
	s_waitcnt_vscnt null, 0x0
	global_atomic_cmpswap_x2 v[14:15], v3, v[8:11], s[6:7] offset:24 glc
	s_waitcnt vmcnt(0)
	v_cmp_eq_u64_e32 vcc_lo, v[14:15], v[10:11]
	v_mov_b32_e32 v10, v14
	v_mov_b32_e32 v11, v15
	s_or_b32 s4, vcc_lo, s4
	s_andn2_b32 exec_lo, exec_lo, s4
	s_cbranch_execnz .LBB1_210
	s_branch .LBB1_135
.LBB1_211:
	s_branch .LBB1_263
.LBB1_212:
	s_cbranch_execz .LBB1_106
; %bb.213:
	v_readfirstlane_b32 s4, v28
	s_waitcnt vmcnt(0)
	v_mov_b32_e32 v8, 0
	v_mov_b32_e32 v9, 0
	v_cmp_eq_u32_e64 s4, s4, v28
	s_and_saveexec_b32 s5, s4
	s_cbranch_execz .LBB1_219
; %bb.214:
	v_mov_b32_e32 v2, 0
	s_mov_b32 s8, exec_lo
	global_load_dwordx2 v[5:6], v2, s[6:7] offset:24 glc dlc
	s_waitcnt vmcnt(0)
	buffer_gl1_inv
	buffer_gl0_inv
	s_clause 0x1
	global_load_dwordx2 v[3:4], v2, s[6:7] offset:40
	global_load_dwordx2 v[7:8], v2, s[6:7]
	s_waitcnt vmcnt(1)
	v_and_b32_e32 v4, v4, v6
	v_and_b32_e32 v3, v3, v5
	v_mul_lo_u32 v4, v4, 24
	v_mul_hi_u32 v9, v3, 24
	v_mul_lo_u32 v3, v3, 24
	v_add_nc_u32_e32 v4, v9, v4
	s_waitcnt vmcnt(0)
	v_add_co_u32 v3, vcc_lo, v7, v3
	v_add_co_ci_u32_e32 v4, vcc_lo, v8, v4, vcc_lo
	global_load_dwordx2 v[3:4], v[3:4], off glc dlc
	s_waitcnt vmcnt(0)
	global_atomic_cmpswap_x2 v[8:9], v2, v[3:6], s[6:7] offset:24 glc
	s_waitcnt vmcnt(0)
	buffer_gl1_inv
	buffer_gl0_inv
	v_cmpx_ne_u64_e64 v[8:9], v[5:6]
	s_cbranch_execz .LBB1_218
; %bb.215:
	s_mov_b32 s9, 0
	.p2align	6
.LBB1_216:                              ; =>This Inner Loop Header: Depth=1
	s_sleep 1
	s_clause 0x1
	global_load_dwordx2 v[3:4], v2, s[6:7] offset:40
	global_load_dwordx2 v[10:11], v2, s[6:7]
	v_mov_b32_e32 v5, v8
	v_mov_b32_e32 v6, v9
	s_waitcnt vmcnt(1)
	v_and_b32_e32 v3, v3, v5
	v_and_b32_e32 v4, v4, v6
	s_waitcnt vmcnt(0)
	v_mad_u64_u32 v[7:8], null, v3, 24, v[10:11]
	v_mov_b32_e32 v3, v8
	v_mad_u64_u32 v[3:4], null, v4, 24, v[3:4]
	v_mov_b32_e32 v8, v3
	global_load_dwordx2 v[3:4], v[7:8], off glc dlc
	s_waitcnt vmcnt(0)
	global_atomic_cmpswap_x2 v[8:9], v2, v[3:6], s[6:7] offset:24 glc
	s_waitcnt vmcnt(0)
	buffer_gl1_inv
	buffer_gl0_inv
	v_cmp_eq_u64_e32 vcc_lo, v[8:9], v[5:6]
	s_or_b32 s9, vcc_lo, s9
	s_andn2_b32 exec_lo, exec_lo, s9
	s_cbranch_execnz .LBB1_216
; %bb.217:
	s_or_b32 exec_lo, exec_lo, s9
.LBB1_218:
	s_or_b32 exec_lo, exec_lo, s8
.LBB1_219:
	s_or_b32 exec_lo, exec_lo, s5
	v_mov_b32_e32 v2, 0
	v_readfirstlane_b32 s8, v8
	v_readfirstlane_b32 s9, v9
	s_mov_b32 s5, exec_lo
	s_clause 0x1
	global_load_dwordx2 v[10:11], v2, s[6:7] offset:40
	global_load_dwordx4 v[4:7], v2, s[6:7]
	s_waitcnt vmcnt(1)
	v_readfirstlane_b32 s10, v10
	v_readfirstlane_b32 s11, v11
	s_and_b64 s[10:11], s[8:9], s[10:11]
	s_mul_i32 s12, s11, 24
	s_mul_hi_u32 s13, s10, 24
	s_mul_i32 s14, s10, 24
	s_add_i32 s13, s13, s12
	s_waitcnt vmcnt(0)
	v_add_co_u32 v8, vcc_lo, v4, s14
	v_add_co_ci_u32_e32 v9, vcc_lo, s13, v5, vcc_lo
	s_and_saveexec_b32 s12, s4
	s_cbranch_execz .LBB1_221
; %bb.220:
	v_mov_b32_e32 v10, s5
	v_mov_b32_e32 v11, v2
	;; [unrolled: 1-line block ×4, first 2 shown]
	global_store_dwordx4 v[8:9], v[10:13], off offset:8
.LBB1_221:
	s_or_b32 exec_lo, exec_lo, s12
	s_lshl_b64 s[10:11], s[10:11], 12
	s_mov_b32 s12, 0
	v_add_co_u32 v6, vcc_lo, v6, s10
	v_add_co_ci_u32_e32 v7, vcc_lo, s11, v7, vcc_lo
	s_mov_b32 s13, s12
	s_mov_b32 s14, s12
	;; [unrolled: 1-line block ×3, first 2 shown]
	v_and_or_b32 v0, 0xffffff1d, v0, 34
	v_mov_b32_e32 v3, v2
	v_readfirstlane_b32 s10, v6
	v_readfirstlane_b32 s11, v7
	v_mov_b32_e32 v10, s12
	v_mov_b32_e32 v11, s13
	;; [unrolled: 1-line block ×4, first 2 shown]
	global_store_dwordx4 v29, v[0:3], s[10:11]
	global_store_dwordx4 v29, v[10:13], s[10:11] offset:16
	global_store_dwordx4 v29, v[10:13], s[10:11] offset:32
	;; [unrolled: 1-line block ×3, first 2 shown]
	s_and_saveexec_b32 s5, s4
	s_cbranch_execz .LBB1_229
; %bb.222:
	v_mov_b32_e32 v6, 0
	v_mov_b32_e32 v10, s8
	;; [unrolled: 1-line block ×3, first 2 shown]
	s_clause 0x1
	global_load_dwordx2 v[12:13], v6, s[6:7] offset:32 glc dlc
	global_load_dwordx2 v[0:1], v6, s[6:7] offset:40
	s_waitcnt vmcnt(0)
	v_readfirstlane_b32 s10, v0
	v_readfirstlane_b32 s11, v1
	s_and_b64 s[10:11], s[10:11], s[8:9]
	s_mul_i32 s11, s11, 24
	s_mul_hi_u32 s12, s10, 24
	s_mul_i32 s10, s10, 24
	s_add_i32 s12, s12, s11
	v_add_co_u32 v4, vcc_lo, v4, s10
	v_add_co_ci_u32_e32 v5, vcc_lo, s12, v5, vcc_lo
	s_mov_b32 s10, exec_lo
	global_store_dwordx2 v[4:5], v[12:13], off
	s_waitcnt_vscnt null, 0x0
	global_atomic_cmpswap_x2 v[2:3], v6, v[10:13], s[6:7] offset:32 glc
	s_waitcnt vmcnt(0)
	v_cmpx_ne_u64_e64 v[2:3], v[12:13]
	s_cbranch_execz .LBB1_225
; %bb.223:
	s_mov_b32 s11, 0
.LBB1_224:                              ; =>This Inner Loop Header: Depth=1
	v_mov_b32_e32 v0, s8
	v_mov_b32_e32 v1, s9
	s_sleep 1
	global_store_dwordx2 v[4:5], v[2:3], off
	s_waitcnt_vscnt null, 0x0
	global_atomic_cmpswap_x2 v[0:1], v6, v[0:3], s[6:7] offset:32 glc
	s_waitcnt vmcnt(0)
	v_cmp_eq_u64_e32 vcc_lo, v[0:1], v[2:3]
	v_mov_b32_e32 v3, v1
	v_mov_b32_e32 v2, v0
	s_or_b32 s11, vcc_lo, s11
	s_andn2_b32 exec_lo, exec_lo, s11
	s_cbranch_execnz .LBB1_224
.LBB1_225:
	s_or_b32 exec_lo, exec_lo, s10
	v_mov_b32_e32 v3, 0
	s_mov_b32 s11, exec_lo
	s_mov_b32 s10, exec_lo
	v_mbcnt_lo_u32_b32 v2, s11, 0
	global_load_dwordx2 v[0:1], v3, s[6:7] offset:16
	v_cmpx_eq_u32_e32 0, v2
	s_cbranch_execz .LBB1_227
; %bb.226:
	s_bcnt1_i32_b32 s11, s11
	v_mov_b32_e32 v2, s11
	s_waitcnt vmcnt(0)
	global_atomic_add_x2 v[0:1], v[2:3], off offset:8
.LBB1_227:
	s_or_b32 exec_lo, exec_lo, s10
	s_waitcnt vmcnt(0)
	global_load_dwordx2 v[2:3], v[0:1], off offset:16
	s_waitcnt vmcnt(0)
	v_cmp_eq_u64_e32 vcc_lo, 0, v[2:3]
	s_cbranch_vccnz .LBB1_229
; %bb.228:
	global_load_dword v0, v[0:1], off offset:24
	v_mov_b32_e32 v1, 0
	s_waitcnt vmcnt(0)
	v_and_b32_e32 v4, 0x7fffff, v0
	s_waitcnt_vscnt null, 0x0
	global_store_dwordx2 v[2:3], v[0:1], off
	v_readfirstlane_b32 m0, v4
	s_sendmsg sendmsg(MSG_INTERRUPT)
.LBB1_229:
	s_or_b32 exec_lo, exec_lo, s5
	s_branch .LBB1_233
	.p2align	6
.LBB1_230:                              ;   in Loop: Header=BB1_233 Depth=1
	s_or_b32 exec_lo, exec_lo, s5
	v_readfirstlane_b32 s5, v0
	s_cmp_eq_u32 s5, 0
	s_cbranch_scc1 .LBB1_232
; %bb.231:                              ;   in Loop: Header=BB1_233 Depth=1
	s_sleep 1
	s_cbranch_execnz .LBB1_233
	s_branch .LBB1_235
	.p2align	6
.LBB1_232:
	s_branch .LBB1_235
.LBB1_233:                              ; =>This Inner Loop Header: Depth=1
	v_mov_b32_e32 v0, 1
	s_and_saveexec_b32 s5, s4
	s_cbranch_execz .LBB1_230
; %bb.234:                              ;   in Loop: Header=BB1_233 Depth=1
	global_load_dword v0, v[8:9], off offset:20 glc dlc
	s_waitcnt vmcnt(0)
	buffer_gl1_inv
	buffer_gl0_inv
	v_and_b32_e32 v0, 1, v0
	s_branch .LBB1_230
.LBB1_235:
	s_and_saveexec_b32 s5, s4
	s_cbranch_execz .LBB1_239
; %bb.236:
	v_mov_b32_e32 v6, 0
	s_clause 0x2
	global_load_dwordx2 v[2:3], v6, s[6:7] offset:40
	global_load_dwordx2 v[7:8], v6, s[6:7] offset:24 glc dlc
	global_load_dwordx2 v[4:5], v6, s[6:7]
	s_waitcnt vmcnt(2)
	v_add_co_u32 v9, vcc_lo, v2, 1
	v_add_co_ci_u32_e32 v10, vcc_lo, 0, v3, vcc_lo
	v_add_co_u32 v0, vcc_lo, v9, s8
	v_add_co_ci_u32_e32 v1, vcc_lo, s9, v10, vcc_lo
	v_cmp_eq_u64_e32 vcc_lo, 0, v[0:1]
	v_cndmask_b32_e32 v1, v1, v10, vcc_lo
	v_cndmask_b32_e32 v0, v0, v9, vcc_lo
	v_and_b32_e32 v3, v1, v3
	v_and_b32_e32 v2, v0, v2
	v_mul_lo_u32 v3, v3, 24
	v_mul_hi_u32 v9, v2, 24
	v_mul_lo_u32 v2, v2, 24
	v_add_nc_u32_e32 v3, v9, v3
	s_waitcnt vmcnt(0)
	v_add_co_u32 v4, vcc_lo, v4, v2
	v_mov_b32_e32 v2, v7
	v_add_co_ci_u32_e32 v5, vcc_lo, v5, v3, vcc_lo
	v_mov_b32_e32 v3, v8
	global_store_dwordx2 v[4:5], v[7:8], off
	s_waitcnt_vscnt null, 0x0
	global_atomic_cmpswap_x2 v[2:3], v6, v[0:3], s[6:7] offset:24 glc
	s_waitcnt vmcnt(0)
	v_cmp_ne_u64_e32 vcc_lo, v[2:3], v[7:8]
	s_and_b32 exec_lo, exec_lo, vcc_lo
	s_cbranch_execz .LBB1_239
; %bb.237:
	s_mov_b32 s4, 0
.LBB1_238:                              ; =>This Inner Loop Header: Depth=1
	s_sleep 1
	global_store_dwordx2 v[4:5], v[2:3], off
	s_waitcnt_vscnt null, 0x0
	global_atomic_cmpswap_x2 v[7:8], v6, v[0:3], s[6:7] offset:24 glc
	s_waitcnt vmcnt(0)
	v_cmp_eq_u64_e32 vcc_lo, v[7:8], v[2:3]
	v_mov_b32_e32 v2, v7
	v_mov_b32_e32 v3, v8
	s_or_b32 s4, vcc_lo, s4
	s_andn2_b32 exec_lo, exec_lo, s4
	s_cbranch_execnz .LBB1_238
.LBB1_239:
	s_or_b32 exec_lo, exec_lo, s5
                                        ; implicit-def: $vgpr28
	s_andn2_saveexec_b32 s18, s18
	s_cbranch_execnz .LBB1_107
	s_branch .LBB1_263
.LBB1_240:
	s_cbranch_execz .LBB1_263
; %bb.241:
	v_readfirstlane_b32 s4, v28
	s_waitcnt vmcnt(0)
	v_mov_b32_e32 v8, 0
	v_mov_b32_e32 v9, 0
	v_cmp_eq_u32_e64 s4, s4, v28
	s_and_saveexec_b32 s5, s4
	s_cbranch_execz .LBB1_247
; %bb.242:
	v_mov_b32_e32 v2, 0
	s_mov_b32 s8, exec_lo
	global_load_dwordx2 v[5:6], v2, s[6:7] offset:24 glc dlc
	s_waitcnt vmcnt(0)
	buffer_gl1_inv
	buffer_gl0_inv
	s_clause 0x1
	global_load_dwordx2 v[3:4], v2, s[6:7] offset:40
	global_load_dwordx2 v[7:8], v2, s[6:7]
	s_waitcnt vmcnt(1)
	v_and_b32_e32 v4, v4, v6
	v_and_b32_e32 v3, v3, v5
	v_mul_lo_u32 v4, v4, 24
	v_mul_hi_u32 v9, v3, 24
	v_mul_lo_u32 v3, v3, 24
	v_add_nc_u32_e32 v4, v9, v4
	s_waitcnt vmcnt(0)
	v_add_co_u32 v3, vcc_lo, v7, v3
	v_add_co_ci_u32_e32 v4, vcc_lo, v8, v4, vcc_lo
	global_load_dwordx2 v[3:4], v[3:4], off glc dlc
	s_waitcnt vmcnt(0)
	global_atomic_cmpswap_x2 v[8:9], v2, v[3:6], s[6:7] offset:24 glc
	s_waitcnt vmcnt(0)
	buffer_gl1_inv
	buffer_gl0_inv
	v_cmpx_ne_u64_e64 v[8:9], v[5:6]
	s_cbranch_execz .LBB1_246
; %bb.243:
	s_mov_b32 s9, 0
	.p2align	6
.LBB1_244:                              ; =>This Inner Loop Header: Depth=1
	s_sleep 1
	s_clause 0x1
	global_load_dwordx2 v[3:4], v2, s[6:7] offset:40
	global_load_dwordx2 v[10:11], v2, s[6:7]
	v_mov_b32_e32 v5, v8
	v_mov_b32_e32 v6, v9
	s_waitcnt vmcnt(1)
	v_and_b32_e32 v3, v3, v5
	v_and_b32_e32 v4, v4, v6
	s_waitcnt vmcnt(0)
	v_mad_u64_u32 v[7:8], null, v3, 24, v[10:11]
	v_mov_b32_e32 v3, v8
	v_mad_u64_u32 v[3:4], null, v4, 24, v[3:4]
	v_mov_b32_e32 v8, v3
	global_load_dwordx2 v[3:4], v[7:8], off glc dlc
	s_waitcnt vmcnt(0)
	global_atomic_cmpswap_x2 v[8:9], v2, v[3:6], s[6:7] offset:24 glc
	s_waitcnt vmcnt(0)
	buffer_gl1_inv
	buffer_gl0_inv
	v_cmp_eq_u64_e32 vcc_lo, v[8:9], v[5:6]
	s_or_b32 s9, vcc_lo, s9
	s_andn2_b32 exec_lo, exec_lo, s9
	s_cbranch_execnz .LBB1_244
; %bb.245:
	s_or_b32 exec_lo, exec_lo, s9
.LBB1_246:
	s_or_b32 exec_lo, exec_lo, s8
.LBB1_247:
	s_or_b32 exec_lo, exec_lo, s5
	v_mov_b32_e32 v2, 0
	v_readfirstlane_b32 s8, v8
	v_readfirstlane_b32 s9, v9
	s_mov_b32 s5, exec_lo
	s_clause 0x1
	global_load_dwordx2 v[10:11], v2, s[6:7] offset:40
	global_load_dwordx4 v[4:7], v2, s[6:7]
	s_waitcnt vmcnt(1)
	v_readfirstlane_b32 s10, v10
	v_readfirstlane_b32 s11, v11
	s_and_b64 s[10:11], s[8:9], s[10:11]
	s_mul_i32 s12, s11, 24
	s_mul_hi_u32 s13, s10, 24
	s_mul_i32 s14, s10, 24
	s_add_i32 s13, s13, s12
	s_waitcnt vmcnt(0)
	v_add_co_u32 v8, vcc_lo, v4, s14
	v_add_co_ci_u32_e32 v9, vcc_lo, s13, v5, vcc_lo
	s_and_saveexec_b32 s12, s4
	s_cbranch_execz .LBB1_249
; %bb.248:
	v_mov_b32_e32 v10, s5
	v_mov_b32_e32 v11, v2
	;; [unrolled: 1-line block ×4, first 2 shown]
	global_store_dwordx4 v[8:9], v[10:13], off offset:8
.LBB1_249:
	s_or_b32 exec_lo, exec_lo, s12
	s_lshl_b64 s[10:11], s[10:11], 12
	s_mov_b32 s12, 0
	v_add_co_u32 v6, vcc_lo, v6, s10
	v_add_co_ci_u32_e32 v7, vcc_lo, s11, v7, vcc_lo
	s_mov_b32 s13, s12
	s_mov_b32 s14, s12
	;; [unrolled: 1-line block ×3, first 2 shown]
	v_and_or_b32 v0, 0xffffff1d, v0, 34
	v_mov_b32_e32 v3, v2
	v_readfirstlane_b32 s10, v6
	v_readfirstlane_b32 s11, v7
	v_mov_b32_e32 v10, s12
	v_mov_b32_e32 v11, s13
	v_mov_b32_e32 v12, s14
	v_mov_b32_e32 v13, s15
	global_store_dwordx4 v29, v[0:3], s[10:11]
	global_store_dwordx4 v29, v[10:13], s[10:11] offset:16
	global_store_dwordx4 v29, v[10:13], s[10:11] offset:32
	;; [unrolled: 1-line block ×3, first 2 shown]
	s_and_saveexec_b32 s5, s4
	s_cbranch_execz .LBB1_257
; %bb.250:
	v_mov_b32_e32 v6, 0
	v_mov_b32_e32 v10, s8
	;; [unrolled: 1-line block ×3, first 2 shown]
	s_clause 0x1
	global_load_dwordx2 v[12:13], v6, s[6:7] offset:32 glc dlc
	global_load_dwordx2 v[0:1], v6, s[6:7] offset:40
	s_waitcnt vmcnt(0)
	v_readfirstlane_b32 s10, v0
	v_readfirstlane_b32 s11, v1
	s_and_b64 s[10:11], s[10:11], s[8:9]
	s_mul_i32 s11, s11, 24
	s_mul_hi_u32 s12, s10, 24
	s_mul_i32 s10, s10, 24
	s_add_i32 s12, s12, s11
	v_add_co_u32 v4, vcc_lo, v4, s10
	v_add_co_ci_u32_e32 v5, vcc_lo, s12, v5, vcc_lo
	s_mov_b32 s10, exec_lo
	global_store_dwordx2 v[4:5], v[12:13], off
	s_waitcnt_vscnt null, 0x0
	global_atomic_cmpswap_x2 v[2:3], v6, v[10:13], s[6:7] offset:32 glc
	s_waitcnt vmcnt(0)
	v_cmpx_ne_u64_e64 v[2:3], v[12:13]
	s_cbranch_execz .LBB1_253
; %bb.251:
	s_mov_b32 s11, 0
.LBB1_252:                              ; =>This Inner Loop Header: Depth=1
	v_mov_b32_e32 v0, s8
	v_mov_b32_e32 v1, s9
	s_sleep 1
	global_store_dwordx2 v[4:5], v[2:3], off
	s_waitcnt_vscnt null, 0x0
	global_atomic_cmpswap_x2 v[0:1], v6, v[0:3], s[6:7] offset:32 glc
	s_waitcnt vmcnt(0)
	v_cmp_eq_u64_e32 vcc_lo, v[0:1], v[2:3]
	v_mov_b32_e32 v3, v1
	v_mov_b32_e32 v2, v0
	s_or_b32 s11, vcc_lo, s11
	s_andn2_b32 exec_lo, exec_lo, s11
	s_cbranch_execnz .LBB1_252
.LBB1_253:
	s_or_b32 exec_lo, exec_lo, s10
	v_mov_b32_e32 v3, 0
	s_mov_b32 s11, exec_lo
	s_mov_b32 s10, exec_lo
	v_mbcnt_lo_u32_b32 v2, s11, 0
	global_load_dwordx2 v[0:1], v3, s[6:7] offset:16
	v_cmpx_eq_u32_e32 0, v2
	s_cbranch_execz .LBB1_255
; %bb.254:
	s_bcnt1_i32_b32 s11, s11
	v_mov_b32_e32 v2, s11
	s_waitcnt vmcnt(0)
	global_atomic_add_x2 v[0:1], v[2:3], off offset:8
.LBB1_255:
	s_or_b32 exec_lo, exec_lo, s10
	s_waitcnt vmcnt(0)
	global_load_dwordx2 v[2:3], v[0:1], off offset:16
	s_waitcnt vmcnt(0)
	v_cmp_eq_u64_e32 vcc_lo, 0, v[2:3]
	s_cbranch_vccnz .LBB1_257
; %bb.256:
	global_load_dword v0, v[0:1], off offset:24
	v_mov_b32_e32 v1, 0
	s_waitcnt vmcnt(0)
	v_and_b32_e32 v4, 0x7fffff, v0
	s_waitcnt_vscnt null, 0x0
	global_store_dwordx2 v[2:3], v[0:1], off
	v_readfirstlane_b32 m0, v4
	s_sendmsg sendmsg(MSG_INTERRUPT)
.LBB1_257:
	s_or_b32 exec_lo, exec_lo, s5
	s_branch .LBB1_261
	.p2align	6
.LBB1_258:                              ;   in Loop: Header=BB1_261 Depth=1
	s_or_b32 exec_lo, exec_lo, s5
	v_readfirstlane_b32 s5, v0
	s_cmp_eq_u32 s5, 0
	s_cbranch_scc1 .LBB1_260
; %bb.259:                              ;   in Loop: Header=BB1_261 Depth=1
	s_sleep 1
	s_cbranch_execnz .LBB1_261
	s_branch .LBB1_264
	.p2align	6
.LBB1_260:
	s_branch .LBB1_264
.LBB1_261:                              ; =>This Inner Loop Header: Depth=1
	v_mov_b32_e32 v0, 1
	s_and_saveexec_b32 s5, s4
	s_cbranch_execz .LBB1_258
; %bb.262:                              ;   in Loop: Header=BB1_261 Depth=1
	global_load_dword v0, v[8:9], off offset:20 glc dlc
	s_waitcnt vmcnt(0)
	buffer_gl1_inv
	buffer_gl0_inv
	v_and_b32_e32 v0, 1, v0
	s_branch .LBB1_258
.LBB1_263:
	s_or_b32 exec_lo, exec_lo, s18
	s_waitcnt vmcnt(0) lgkmcnt(0)
	s_setpc_b64 s[30:31]
.LBB1_264:
	s_and_saveexec_b32 s5, s4
	s_cbranch_execz .LBB1_268
; %bb.265:
	v_mov_b32_e32 v6, 0
	s_clause 0x2
	global_load_dwordx2 v[2:3], v6, s[6:7] offset:40
	global_load_dwordx2 v[7:8], v6, s[6:7] offset:24 glc dlc
	global_load_dwordx2 v[4:5], v6, s[6:7]
	s_waitcnt vmcnt(2)
	v_add_co_u32 v9, vcc_lo, v2, 1
	v_add_co_ci_u32_e32 v10, vcc_lo, 0, v3, vcc_lo
	v_add_co_u32 v0, vcc_lo, v9, s8
	v_add_co_ci_u32_e32 v1, vcc_lo, s9, v10, vcc_lo
	v_cmp_eq_u64_e32 vcc_lo, 0, v[0:1]
	v_cndmask_b32_e32 v1, v1, v10, vcc_lo
	v_cndmask_b32_e32 v0, v0, v9, vcc_lo
	v_and_b32_e32 v3, v1, v3
	v_and_b32_e32 v2, v0, v2
	v_mul_lo_u32 v3, v3, 24
	v_mul_hi_u32 v9, v2, 24
	v_mul_lo_u32 v2, v2, 24
	v_add_nc_u32_e32 v3, v9, v3
	s_waitcnt vmcnt(0)
	v_add_co_u32 v4, vcc_lo, v4, v2
	v_mov_b32_e32 v2, v7
	v_add_co_ci_u32_e32 v5, vcc_lo, v5, v3, vcc_lo
	v_mov_b32_e32 v3, v8
	global_store_dwordx2 v[4:5], v[7:8], off
	s_waitcnt_vscnt null, 0x0
	global_atomic_cmpswap_x2 v[2:3], v6, v[0:3], s[6:7] offset:24 glc
	s_waitcnt vmcnt(0)
	v_cmp_ne_u64_e32 vcc_lo, v[2:3], v[7:8]
	s_and_b32 exec_lo, exec_lo, vcc_lo
	s_cbranch_execz .LBB1_268
; %bb.266:
	s_mov_b32 s4, 0
.LBB1_267:                              ; =>This Inner Loop Header: Depth=1
	s_sleep 1
	global_store_dwordx2 v[4:5], v[2:3], off
	s_waitcnt_vscnt null, 0x0
	global_atomic_cmpswap_x2 v[7:8], v6, v[0:3], s[6:7] offset:24 glc
	s_waitcnt vmcnt(0)
	v_cmp_eq_u64_e32 vcc_lo, v[7:8], v[2:3]
	v_mov_b32_e32 v2, v7
	v_mov_b32_e32 v3, v8
	s_or_b32 s4, vcc_lo, s4
	s_andn2_b32 exec_lo, exec_lo, s4
	s_cbranch_execnz .LBB1_267
.LBB1_268:
	s_or_b32 exec_lo, exec_lo, s5
	s_or_b32 exec_lo, exec_lo, s18
	s_waitcnt lgkmcnt(0)
	s_setpc_b64 s[30:31]
.Lfunc_end1:
	.size	_ZN8migraphx4testlsIKNS_13basic_printerIZNS_4coutEvEUlT_E_EEEERS3_S7_RKNS0_14lhs_expressionIbNS0_3nopEEE, .Lfunc_end1-_ZN8migraphx4testlsIKNS_13basic_printerIZNS_4coutEvEUlT_E_EEEERS3_S7_RKNS0_14lhs_expressionIbNS0_3nopEEE
                                        ; -- End function
	.section	.AMDGPU.csdata,"",@progbits
; Function info:
; codeLenInByte = 9464
; NumSgprs: 34
; NumVgprs: 32
; ScratchSize: 0
; MemoryBound: 0
	.text
	.p2align	2                               ; -- Begin function _ZN8migraphx4test4failEv
	.type	_ZN8migraphx4test4failEv,@function
_ZN8migraphx4test4failEv:               ; @_ZN8migraphx4test4failEv
; %bb.0:
	s_waitcnt vmcnt(0) expcnt(0) lgkmcnt(0)
	v_mov_b32_e32 v0, 0
	s_clause 0x1
	global_load_dword v1, v0, s[8:9] offset:18
	global_load_ushort v2, v0, s[8:9] offset:22
	s_clause 0x1
	s_load_dwordx2 s[4:5], s[8:9], 0x0
	s_load_dword s6, s[8:9], 0x8
	s_waitcnt vmcnt(1)
	v_cmp_ne_u16_e32 vcc_lo, 0, v1
	v_cmp_ne_u16_sdwa s7, v1, v0 src0_sel:WORD_1 src1_sel:DWORD
	s_cmp_lg_u32 vcc_lo, 0
	s_waitcnt vmcnt(0)
	v_cmp_ne_u16_e32 vcc_lo, 0, v2
	s_waitcnt lgkmcnt(0)
	s_addc_u32 s10, s4, 0
	s_cmp_lg_u32 s7, 0
	s_addc_u32 s7, s5, 0
	s_cmp_lg_u32 vcc_lo, 0
	s_mul_i32 s7, s7, s10
	s_addc_u32 s10, s6, 0
	s_mul_i32 s7, s7, s10
	s_cmp_lg_u32 s7, 1
	s_cbranch_scc1 .LBB2_3
; %bb.1:
	s_cmp_lt_u32 s14, s6
	s_cselect_b32 s6, 16, 22
	s_add_u32 s6, s8, s6
	s_addc_u32 s7, s9, 0
	s_cmp_lt_u32 s13, s5
	s_cselect_b32 s5, 14, 20
	s_add_u32 s10, s8, s5
	s_addc_u32 s11, s9, 0
	s_clause 0x1
	global_load_ushort v1, v0, s[6:7]
	global_load_ushort v2, v0, s[10:11]
	s_cmp_lt_u32 s12, s4
	s_cselect_b32 s4, 12, 18
	s_add_u32 s4, s8, s4
	s_addc_u32 s5, s9, 0
	global_load_ushort v0, v0, s[4:5]
	s_waitcnt vmcnt(1)
	v_mul_lo_u32 v1, v2, v1
	s_waitcnt vmcnt(0)
	v_mul_lo_u32 v0, v1, v0
	v_cmp_lt_u32_e32 vcc_lo, 32, v0
	s_cbranch_vccnz .LBB2_3
; %bb.2:
	s_endpgm
.LBB2_3:
	s_trap 2
.Lfunc_end2:
	.size	_ZN8migraphx4test4failEv, .Lfunc_end2-_ZN8migraphx4test4failEv
                                        ; -- End function
	.section	.AMDGPU.csdata,"",@progbits
; Function info:
; codeLenInByte = 232
; NumSgprs: 17
; NumVgprs: 3
; ScratchSize: 0
; MemoryBound: 0
	.text
	.protected	gpu_test_kernel         ; -- Begin function gpu_test_kernel
	.globl	gpu_test_kernel
	.p2align	8
	.type	gpu_test_kernel,@function
gpu_test_kernel:                        ; @gpu_test_kernel
; %bb.0:
	s_add_u32 s8, s8, s13
	s_movk_i32 s32, 0x400
	s_addc_u32 s9, s9, 0
	s_setreg_b32 hwreg(HW_REG_FLAT_SCR_LO), s8
	s_setreg_b32 hwreg(HW_REG_FLAT_SCR_HI), s9
	s_load_dword s8, s[6:7], 0x0
	s_add_u32 s0, s0, s13
	s_addc_u32 s1, s1, 0
	s_waitcnt lgkmcnt(0)
	s_cmp_lg_u32 s8, 5
	s_cbranch_scc1 .LBB3_1683
; %bb.1:
	s_load_dwordx2 s[4:5], s[4:5], 0x4
	v_mov_b32_e32 v4, 1
	v_mov_b32_e32 v6, 4
	;; [unrolled: 1-line block ×3, first 2 shown]
	s_mov_b32 s9, 0
                                        ; implicit-def: $sgpr8
                                        ; implicit-def: $sgpr22
	s_waitcnt lgkmcnt(0)
	s_lshr_b32 s4, s4, 16
	s_mul_i32 s4, s4, s5
	v_mul_lo_u32 v3, s4, v0
	v_mad_u32_u24 v1, v1, s5, v3
	v_mov_b32_e32 v3, 2
	s_mov_b32 s5, 0
	buffer_store_dword v4, off, s[0:3], 0
	buffer_store_dword v3, off, s[0:3], 0 offset:4
	buffer_store_dword v5, off, s[0:3], 0 offset:8
	v_add_lshl_u32 v1, v1, v2, 4
	ds_write2_b32 v1, v4, v3 offset1:1
	ds_write2_b32 v1, v5, v6 offset0:2 offset1:3
	buffer_store_dword v6, off, s[0:3], 0 offset:12
	.p2align	6
.LBB3_2:                                ; =>This Inner Loop Header: Depth=1
	v_add_nc_u32_e64 v2, s9, 0
	v_add_nc_u32_e32 v3, s9, v1
	s_add_i32 s4, s9, 4
	s_cmp_eq_u32 s9, 12
	s_mov_b32 s9, s4
	buffer_load_dword v2, v2, s[0:3], 0 offen
	ds_read_b32 v3, v3
	s_cselect_b32 s13, -1, 0
	s_waitcnt vmcnt(0) lgkmcnt(0)
	v_cmp_ne_u32_e32 vcc_lo, v3, v2
	v_cmp_eq_u32_e64 s4, v3, v2
	s_or_b32 s13, vcc_lo, s13
	s_and_b32 s13, exec_lo, s13
	s_or_b32 s5, s13, s5
	s_andn2_b32 s13, s22, exec_lo
	s_and_b32 s4, s4, exec_lo
	s_andn2_b32 s8, s8, exec_lo
	s_and_b32 s14, vcc_lo, exec_lo
	s_or_b32 s22, s13, s4
	s_or_b32 s8, s8, s14
	s_andn2_b32 exec_lo, exec_lo, s5
	s_cbranch_execnz .LBB3_2
; %bb.3:
	s_or_b32 exec_lo, exec_lo, s5
	s_and_saveexec_b32 s4, s8
	s_xor_b32 s33, exec_lo, s4
	s_cbranch_execz .LBB3_1682
; %bb.4:
	s_mov_b32 s34, exec_lo
	v_cmpx_eq_u32_e32 0, v0
	s_cbranch_execz .LBB3_1681
; %bb.5:
	s_load_dwordx2 s[26:27], s[6:7], 0x60
	v_mbcnt_lo_u32_b32 v37, -1, 0
	v_mov_b32_e32 v6, 0
	v_mov_b32_e32 v7, 0
	v_readfirstlane_b32 s4, v37
	v_cmp_eq_u32_e64 s4, s4, v37
	s_and_saveexec_b32 s5, s4
	s_cbranch_execz .LBB3_11
; %bb.6:
	v_mov_b32_e32 v0, 0
	s_mov_b32 s8, exec_lo
	s_waitcnt lgkmcnt(0)
	global_load_dwordx2 v[3:4], v0, s[26:27] offset:24 glc dlc
	s_waitcnt vmcnt(0)
	buffer_gl1_inv
	buffer_gl0_inv
	s_clause 0x1
	global_load_dwordx2 v[1:2], v0, s[26:27] offset:40
	global_load_dwordx2 v[5:6], v0, s[26:27]
	s_waitcnt vmcnt(1)
	v_and_b32_e32 v2, v2, v4
	v_and_b32_e32 v1, v1, v3
	v_mul_lo_u32 v2, v2, 24
	v_mul_hi_u32 v7, v1, 24
	v_mul_lo_u32 v1, v1, 24
	v_add_nc_u32_e32 v2, v7, v2
	s_waitcnt vmcnt(0)
	v_add_co_u32 v1, vcc_lo, v5, v1
	v_add_co_ci_u32_e32 v2, vcc_lo, v6, v2, vcc_lo
	global_load_dwordx2 v[1:2], v[1:2], off glc dlc
	s_waitcnt vmcnt(0)
	global_atomic_cmpswap_x2 v[6:7], v0, v[1:4], s[26:27] offset:24 glc
	s_waitcnt vmcnt(0)
	buffer_gl1_inv
	buffer_gl0_inv
	v_cmpx_ne_u64_e64 v[6:7], v[3:4]
	s_cbranch_execz .LBB3_10
; %bb.7:
	s_mov_b32 s9, 0
	.p2align	6
.LBB3_8:                                ; =>This Inner Loop Header: Depth=1
	s_sleep 1
	s_clause 0x1
	global_load_dwordx2 v[1:2], v0, s[26:27] offset:40
	global_load_dwordx2 v[8:9], v0, s[26:27]
	v_mov_b32_e32 v3, v6
	v_mov_b32_e32 v4, v7
	s_waitcnt vmcnt(1)
	v_and_b32_e32 v1, v1, v3
	v_and_b32_e32 v2, v2, v4
	s_waitcnt vmcnt(0)
	v_mad_u64_u32 v[5:6], null, v1, 24, v[8:9]
	v_mov_b32_e32 v1, v6
	v_mad_u64_u32 v[1:2], null, v2, 24, v[1:2]
	v_mov_b32_e32 v6, v1
	global_load_dwordx2 v[1:2], v[5:6], off glc dlc
	s_waitcnt vmcnt(0)
	global_atomic_cmpswap_x2 v[6:7], v0, v[1:4], s[26:27] offset:24 glc
	s_waitcnt vmcnt(0)
	buffer_gl1_inv
	buffer_gl0_inv
	v_cmp_eq_u64_e32 vcc_lo, v[6:7], v[3:4]
	s_or_b32 s9, vcc_lo, s9
	s_andn2_b32 exec_lo, exec_lo, s9
	s_cbranch_execnz .LBB3_8
; %bb.9:
	s_or_b32 exec_lo, exec_lo, s9
.LBB3_10:
	s_or_b32 exec_lo, exec_lo, s8
.LBB3_11:
	s_or_b32 exec_lo, exec_lo, s5
	v_mov_b32_e32 v5, 0
	v_readfirstlane_b32 s8, v6
	v_readfirstlane_b32 s9, v7
	s_mov_b32 s5, exec_lo
	s_waitcnt lgkmcnt(0)
	s_clause 0x1
	global_load_dwordx2 v[8:9], v5, s[26:27] offset:40
	global_load_dwordx4 v[0:3], v5, s[26:27]
	s_waitcnt vmcnt(1)
	v_readfirstlane_b32 s14, v8
	v_readfirstlane_b32 s15, v9
	s_and_b64 s[14:15], s[8:9], s[14:15]
	s_mul_i32 s13, s15, 24
	s_mul_hi_u32 s16, s14, 24
	s_mul_i32 s17, s14, 24
	s_add_i32 s16, s16, s13
	s_waitcnt vmcnt(0)
	v_add_co_u32 v8, vcc_lo, v0, s17
	v_add_co_ci_u32_e32 v9, vcc_lo, s16, v1, vcc_lo
	s_and_saveexec_b32 s13, s4
	s_cbranch_execz .LBB3_13
; %bb.12:
	v_mov_b32_e32 v4, s5
	v_mov_b32_e32 v6, 2
	;; [unrolled: 1-line block ×3, first 2 shown]
	global_store_dwordx4 v[8:9], v[4:7], off offset:8
.LBB3_13:
	s_or_b32 exec_lo, exec_lo, s13
	s_lshl_b64 s[14:15], s[14:15], 12
	v_lshlrev_b32_e32 v36, 6, v37
	v_add_co_u32 v2, vcc_lo, v2, s14
	v_add_co_ci_u32_e32 v3, vcc_lo, s15, v3, vcc_lo
	s_mov_b32 s16, 0
	v_add_co_u32 v10, vcc_lo, v2, v36
	s_mov_b32 s17, s16
	s_mov_b32 s18, s16
	;; [unrolled: 1-line block ×3, first 2 shown]
	v_mov_b32_e32 v4, 33
	v_mov_b32_e32 v6, v5
	;; [unrolled: 1-line block ×3, first 2 shown]
	v_readfirstlane_b32 s14, v2
	v_readfirstlane_b32 s15, v3
	v_mov_b32_e32 v12, s16
	v_add_co_ci_u32_e32 v11, vcc_lo, 0, v3, vcc_lo
	v_mov_b32_e32 v13, s17
	v_mov_b32_e32 v14, s18
	;; [unrolled: 1-line block ×3, first 2 shown]
	global_store_dwordx4 v36, v[4:7], s[14:15]
	global_store_dwordx4 v36, v[12:15], s[14:15] offset:16
	global_store_dwordx4 v36, v[12:15], s[14:15] offset:32
	;; [unrolled: 1-line block ×3, first 2 shown]
	s_and_saveexec_b32 s5, s4
	s_cbranch_execz .LBB3_21
; %bb.14:
	v_mov_b32_e32 v6, 0
	v_mov_b32_e32 v12, s8
	;; [unrolled: 1-line block ×3, first 2 shown]
	s_mov_b32 s13, exec_lo
	s_clause 0x1
	global_load_dwordx2 v[14:15], v6, s[26:27] offset:32 glc dlc
	global_load_dwordx2 v[2:3], v6, s[26:27] offset:40
	s_waitcnt vmcnt(0)
	v_and_b32_e32 v3, s9, v3
	v_and_b32_e32 v2, s8, v2
	v_mul_lo_u32 v3, v3, 24
	v_mul_hi_u32 v4, v2, 24
	v_mul_lo_u32 v2, v2, 24
	v_add_nc_u32_e32 v3, v4, v3
	v_add_co_u32 v4, vcc_lo, v0, v2
	v_add_co_ci_u32_e32 v5, vcc_lo, v1, v3, vcc_lo
	global_store_dwordx2 v[4:5], v[14:15], off
	s_waitcnt_vscnt null, 0x0
	global_atomic_cmpswap_x2 v[2:3], v6, v[12:15], s[26:27] offset:32 glc
	s_waitcnt vmcnt(0)
	v_cmpx_ne_u64_e64 v[2:3], v[14:15]
	s_cbranch_execz .LBB3_17
; %bb.15:
	s_mov_b32 s14, 0
.LBB3_16:                               ; =>This Inner Loop Header: Depth=1
	v_mov_b32_e32 v0, s8
	v_mov_b32_e32 v1, s9
	s_sleep 1
	global_store_dwordx2 v[4:5], v[2:3], off
	s_waitcnt_vscnt null, 0x0
	global_atomic_cmpswap_x2 v[0:1], v6, v[0:3], s[26:27] offset:32 glc
	s_waitcnt vmcnt(0)
	v_cmp_eq_u64_e32 vcc_lo, v[0:1], v[2:3]
	v_mov_b32_e32 v3, v1
	v_mov_b32_e32 v2, v0
	s_or_b32 s14, vcc_lo, s14
	s_andn2_b32 exec_lo, exec_lo, s14
	s_cbranch_execnz .LBB3_16
.LBB3_17:
	s_or_b32 exec_lo, exec_lo, s13
	v_mov_b32_e32 v3, 0
	s_mov_b32 s14, exec_lo
	s_mov_b32 s13, exec_lo
	v_mbcnt_lo_u32_b32 v2, s14, 0
	global_load_dwordx2 v[0:1], v3, s[26:27] offset:16
	v_cmpx_eq_u32_e32 0, v2
	s_cbranch_execz .LBB3_19
; %bb.18:
	s_bcnt1_i32_b32 s14, s14
	v_mov_b32_e32 v2, s14
	s_waitcnt vmcnt(0)
	global_atomic_add_x2 v[0:1], v[2:3], off offset:8
.LBB3_19:
	s_or_b32 exec_lo, exec_lo, s13
	s_waitcnt vmcnt(0)
	global_load_dwordx2 v[2:3], v[0:1], off offset:16
	s_waitcnt vmcnt(0)
	v_cmp_eq_u64_e32 vcc_lo, 0, v[2:3]
	s_cbranch_vccnz .LBB3_21
; %bb.20:
	global_load_dword v0, v[0:1], off offset:24
	v_mov_b32_e32 v1, 0
	s_waitcnt vmcnt(0)
	v_and_b32_e32 v4, 0x7fffff, v0
	s_waitcnt_vscnt null, 0x0
	global_store_dwordx2 v[2:3], v[0:1], off
	v_readfirstlane_b32 m0, v4
	s_sendmsg sendmsg(MSG_INTERRUPT)
.LBB3_21:
	s_or_b32 exec_lo, exec_lo, s5
	s_branch .LBB3_25
	.p2align	6
.LBB3_22:                               ;   in Loop: Header=BB3_25 Depth=1
	s_or_b32 exec_lo, exec_lo, s5
	v_readfirstlane_b32 s5, v0
	s_cmp_eq_u32 s5, 0
	s_cbranch_scc1 .LBB3_24
; %bb.23:                               ;   in Loop: Header=BB3_25 Depth=1
	s_sleep 1
	s_cbranch_execnz .LBB3_25
	s_branch .LBB3_27
	.p2align	6
.LBB3_24:
	s_branch .LBB3_27
.LBB3_25:                               ; =>This Inner Loop Header: Depth=1
	v_mov_b32_e32 v0, 1
	s_and_saveexec_b32 s5, s4
	s_cbranch_execz .LBB3_22
; %bb.26:                               ;   in Loop: Header=BB3_25 Depth=1
	global_load_dword v0, v[8:9], off offset:20 glc dlc
	s_waitcnt vmcnt(0)
	buffer_gl1_inv
	buffer_gl0_inv
	v_and_b32_e32 v0, 1, v0
	s_branch .LBB3_22
.LBB3_27:
	global_load_dwordx2 v[4:5], v[10:11], off
	s_and_saveexec_b32 s5, s4
	s_cbranch_execz .LBB3_31
; %bb.28:
	v_mov_b32_e32 v8, 0
	s_clause 0x2
	global_load_dwordx2 v[2:3], v8, s[26:27] offset:40
	global_load_dwordx2 v[9:10], v8, s[26:27] offset:24 glc dlc
	global_load_dwordx2 v[6:7], v8, s[26:27]
	s_waitcnt vmcnt(2)
	v_add_co_u32 v11, vcc_lo, v2, 1
	v_add_co_ci_u32_e32 v12, vcc_lo, 0, v3, vcc_lo
	v_add_co_u32 v0, vcc_lo, v11, s8
	v_add_co_ci_u32_e32 v1, vcc_lo, s9, v12, vcc_lo
	v_cmp_eq_u64_e32 vcc_lo, 0, v[0:1]
	v_cndmask_b32_e32 v1, v1, v12, vcc_lo
	v_cndmask_b32_e32 v0, v0, v11, vcc_lo
	v_and_b32_e32 v3, v1, v3
	v_and_b32_e32 v2, v0, v2
	v_mul_lo_u32 v3, v3, 24
	v_mul_hi_u32 v11, v2, 24
	v_mul_lo_u32 v2, v2, 24
	v_add_nc_u32_e32 v3, v11, v3
	s_waitcnt vmcnt(0)
	v_add_co_u32 v6, vcc_lo, v6, v2
	v_mov_b32_e32 v2, v9
	v_add_co_ci_u32_e32 v7, vcc_lo, v7, v3, vcc_lo
	v_mov_b32_e32 v3, v10
	global_store_dwordx2 v[6:7], v[9:10], off
	s_waitcnt_vscnt null, 0x0
	global_atomic_cmpswap_x2 v[2:3], v8, v[0:3], s[26:27] offset:24 glc
	s_waitcnt vmcnt(0)
	v_cmp_ne_u64_e32 vcc_lo, v[2:3], v[9:10]
	s_and_b32 exec_lo, exec_lo, vcc_lo
	s_cbranch_execz .LBB3_31
; %bb.29:
	s_mov_b32 s4, 0
.LBB3_30:                               ; =>This Inner Loop Header: Depth=1
	s_sleep 1
	global_store_dwordx2 v[6:7], v[2:3], off
	s_waitcnt_vscnt null, 0x0
	global_atomic_cmpswap_x2 v[9:10], v8, v[0:3], s[26:27] offset:24 glc
	s_waitcnt vmcnt(0)
	v_cmp_eq_u64_e32 vcc_lo, v[9:10], v[2:3]
	v_mov_b32_e32 v2, v9
	v_mov_b32_e32 v3, v10
	s_or_b32 s4, vcc_lo, s4
	s_andn2_b32 exec_lo, exec_lo, s4
	s_cbranch_execnz .LBB3_30
.LBB3_31:
	s_or_b32 exec_lo, exec_lo, s5
	s_getpc_b64 s[8:9]
	s_add_u32 s8, s8, .str.5@rel32@lo+4
	s_addc_u32 s9, s9, .str.5@rel32@hi+12
	s_cmp_lg_u64 s[8:9], 0
	s_cselect_b32 s13, -1, 0
	s_and_b32 vcc_lo, exec_lo, s13
	s_cbranch_vccz .LBB3_110
; %bb.32:
	s_waitcnt vmcnt(0)
	v_and_b32_e32 v28, 2, v4
	v_mov_b32_e32 v7, 0
	v_and_b32_e32 v0, -3, v4
	v_mov_b32_e32 v1, v5
	v_mov_b32_e32 v8, 2
	;; [unrolled: 1-line block ×3, first 2 shown]
	s_mov_b64 s[14:15], 3
	s_branch .LBB3_34
.LBB3_33:                               ;   in Loop: Header=BB3_34 Depth=1
	s_or_b32 exec_lo, exec_lo, s5
	s_sub_u32 s14, s14, s16
	s_subb_u32 s15, s15, s17
	s_add_u32 s8, s8, s16
	s_addc_u32 s9, s9, s17
	s_cmp_lg_u64 s[14:15], 0
	s_cbranch_scc0 .LBB3_109
.LBB3_34:                               ; =>This Loop Header: Depth=1
                                        ;     Child Loop BB3_43 Depth 2
                                        ;     Child Loop BB3_39 Depth 2
	;; [unrolled: 1-line block ×11, first 2 shown]
	v_cmp_lt_u64_e64 s4, s[14:15], 56
	v_cmp_gt_u64_e64 s5, s[14:15], 7
                                        ; implicit-def: $vgpr2_vgpr3
                                        ; implicit-def: $sgpr23
	s_and_b32 s4, s4, exec_lo
	s_cselect_b32 s17, s15, 0
	s_cselect_b32 s16, s14, 56
	s_and_b32 vcc_lo, exec_lo, s5
	s_mov_b32 s4, -1
	s_cbranch_vccz .LBB3_41
; %bb.35:                               ;   in Loop: Header=BB3_34 Depth=1
	s_andn2_b32 vcc_lo, exec_lo, s4
	s_mov_b64 s[4:5], s[8:9]
	s_cbranch_vccz .LBB3_45
.LBB3_36:                               ;   in Loop: Header=BB3_34 Depth=1
	s_cmp_gt_u32 s23, 7
	s_cbranch_scc1 .LBB3_46
.LBB3_37:                               ;   in Loop: Header=BB3_34 Depth=1
	v_mov_b32_e32 v10, 0
	v_mov_b32_e32 v11, 0
	s_cmp_eq_u32 s23, 0
	s_cbranch_scc1 .LBB3_40
; %bb.38:                               ;   in Loop: Header=BB3_34 Depth=1
	s_mov_b64 s[18:19], 0
	s_mov_b64 s[20:21], 0
.LBB3_39:                               ;   Parent Loop BB3_34 Depth=1
                                        ; =>  This Inner Loop Header: Depth=2
	s_add_u32 s24, s4, s20
	s_addc_u32 s25, s5, s21
	s_add_u32 s20, s20, 1
	global_load_ubyte v6, v7, s[24:25]
	s_addc_u32 s21, s21, 0
	s_waitcnt vmcnt(0)
	v_and_b32_e32 v6, 0xffff, v6
	v_lshlrev_b64 v[12:13], s18, v[6:7]
	s_add_u32 s18, s18, 8
	s_addc_u32 s19, s19, 0
	s_cmp_lg_u32 s23, s20
	v_or_b32_e32 v10, v12, v10
	v_or_b32_e32 v11, v13, v11
	s_cbranch_scc1 .LBB3_39
.LBB3_40:                               ;   in Loop: Header=BB3_34 Depth=1
	s_mov_b32 s24, 0
	s_cbranch_execz .LBB3_47
	s_branch .LBB3_48
.LBB3_41:                               ;   in Loop: Header=BB3_34 Depth=1
	s_waitcnt vmcnt(0)
	v_mov_b32_e32 v2, 0
	v_mov_b32_e32 v3, 0
	s_cmp_eq_u64 s[14:15], 0
	s_mov_b64 s[4:5], 0
	s_cbranch_scc1 .LBB3_44
; %bb.42:                               ;   in Loop: Header=BB3_34 Depth=1
	v_mov_b32_e32 v2, 0
	v_mov_b32_e32 v3, 0
	s_lshl_b64 s[18:19], s[16:17], 3
	s_mov_b64 s[20:21], s[8:9]
.LBB3_43:                               ;   Parent Loop BB3_34 Depth=1
                                        ; =>  This Inner Loop Header: Depth=2
	global_load_ubyte v6, v7, s[20:21]
	s_waitcnt vmcnt(0)
	v_and_b32_e32 v6, 0xffff, v6
	v_lshlrev_b64 v[10:11], s4, v[6:7]
	s_add_u32 s4, s4, 8
	s_addc_u32 s5, s5, 0
	s_add_u32 s20, s20, 1
	s_addc_u32 s21, s21, 0
	s_cmp_lg_u32 s18, s4
	v_or_b32_e32 v2, v10, v2
	v_or_b32_e32 v3, v11, v3
	s_cbranch_scc1 .LBB3_43
.LBB3_44:                               ;   in Loop: Header=BB3_34 Depth=1
	s_mov_b32 s23, 0
	s_mov_b64 s[4:5], s[8:9]
	s_cbranch_execnz .LBB3_36
.LBB3_45:                               ;   in Loop: Header=BB3_34 Depth=1
	global_load_dwordx2 v[2:3], v7, s[8:9]
	s_add_i32 s23, s16, -8
	s_add_u32 s4, s8, 8
	s_addc_u32 s5, s9, 0
	s_cmp_gt_u32 s23, 7
	s_cbranch_scc0 .LBB3_37
.LBB3_46:                               ;   in Loop: Header=BB3_34 Depth=1
                                        ; implicit-def: $vgpr10_vgpr11
                                        ; implicit-def: $sgpr24
.LBB3_47:                               ;   in Loop: Header=BB3_34 Depth=1
	global_load_dwordx2 v[10:11], v7, s[4:5]
	s_add_i32 s24, s23, -8
	s_add_u32 s4, s4, 8
	s_addc_u32 s5, s5, 0
.LBB3_48:                               ;   in Loop: Header=BB3_34 Depth=1
	s_cmp_gt_u32 s24, 7
	s_cbranch_scc1 .LBB3_53
; %bb.49:                               ;   in Loop: Header=BB3_34 Depth=1
	v_mov_b32_e32 v12, 0
	v_mov_b32_e32 v13, 0
	s_cmp_eq_u32 s24, 0
	s_cbranch_scc1 .LBB3_52
; %bb.50:                               ;   in Loop: Header=BB3_34 Depth=1
	s_mov_b64 s[18:19], 0
	s_mov_b64 s[20:21], 0
.LBB3_51:                               ;   Parent Loop BB3_34 Depth=1
                                        ; =>  This Inner Loop Header: Depth=2
	s_add_u32 s28, s4, s20
	s_addc_u32 s29, s5, s21
	s_add_u32 s20, s20, 1
	global_load_ubyte v6, v7, s[28:29]
	s_addc_u32 s21, s21, 0
	s_waitcnt vmcnt(0)
	v_and_b32_e32 v6, 0xffff, v6
	v_lshlrev_b64 v[14:15], s18, v[6:7]
	s_add_u32 s18, s18, 8
	s_addc_u32 s19, s19, 0
	s_cmp_lg_u32 s24, s20
	v_or_b32_e32 v12, v14, v12
	v_or_b32_e32 v13, v15, v13
	s_cbranch_scc1 .LBB3_51
.LBB3_52:                               ;   in Loop: Header=BB3_34 Depth=1
	s_mov_b32 s23, 0
	s_cbranch_execz .LBB3_54
	s_branch .LBB3_55
.LBB3_53:                               ;   in Loop: Header=BB3_34 Depth=1
                                        ; implicit-def: $sgpr23
.LBB3_54:                               ;   in Loop: Header=BB3_34 Depth=1
	global_load_dwordx2 v[12:13], v7, s[4:5]
	s_add_i32 s23, s24, -8
	s_add_u32 s4, s4, 8
	s_addc_u32 s5, s5, 0
.LBB3_55:                               ;   in Loop: Header=BB3_34 Depth=1
	s_cmp_gt_u32 s23, 7
	s_cbranch_scc1 .LBB3_60
; %bb.56:                               ;   in Loop: Header=BB3_34 Depth=1
	v_mov_b32_e32 v14, 0
	v_mov_b32_e32 v15, 0
	s_cmp_eq_u32 s23, 0
	s_cbranch_scc1 .LBB3_59
; %bb.57:                               ;   in Loop: Header=BB3_34 Depth=1
	s_mov_b64 s[18:19], 0
	s_mov_b64 s[20:21], 0
.LBB3_58:                               ;   Parent Loop BB3_34 Depth=1
                                        ; =>  This Inner Loop Header: Depth=2
	s_add_u32 s24, s4, s20
	s_addc_u32 s25, s5, s21
	s_add_u32 s20, s20, 1
	global_load_ubyte v6, v7, s[24:25]
	s_addc_u32 s21, s21, 0
	s_waitcnt vmcnt(0)
	v_and_b32_e32 v6, 0xffff, v6
	v_lshlrev_b64 v[16:17], s18, v[6:7]
	s_add_u32 s18, s18, 8
	s_addc_u32 s19, s19, 0
	s_cmp_lg_u32 s23, s20
	v_or_b32_e32 v14, v16, v14
	v_or_b32_e32 v15, v17, v15
	s_cbranch_scc1 .LBB3_58
.LBB3_59:                               ;   in Loop: Header=BB3_34 Depth=1
	s_mov_b32 s24, 0
	s_cbranch_execz .LBB3_61
	s_branch .LBB3_62
.LBB3_60:                               ;   in Loop: Header=BB3_34 Depth=1
                                        ; implicit-def: $vgpr14_vgpr15
                                        ; implicit-def: $sgpr24
.LBB3_61:                               ;   in Loop: Header=BB3_34 Depth=1
	global_load_dwordx2 v[14:15], v7, s[4:5]
	s_add_i32 s24, s23, -8
	s_add_u32 s4, s4, 8
	s_addc_u32 s5, s5, 0
.LBB3_62:                               ;   in Loop: Header=BB3_34 Depth=1
	s_cmp_gt_u32 s24, 7
	s_cbranch_scc1 .LBB3_67
; %bb.63:                               ;   in Loop: Header=BB3_34 Depth=1
	v_mov_b32_e32 v16, 0
	v_mov_b32_e32 v17, 0
	s_cmp_eq_u32 s24, 0
	s_cbranch_scc1 .LBB3_66
; %bb.64:                               ;   in Loop: Header=BB3_34 Depth=1
	s_mov_b64 s[18:19], 0
	s_mov_b64 s[20:21], 0
.LBB3_65:                               ;   Parent Loop BB3_34 Depth=1
                                        ; =>  This Inner Loop Header: Depth=2
	s_add_u32 s28, s4, s20
	s_addc_u32 s29, s5, s21
	s_add_u32 s20, s20, 1
	global_load_ubyte v6, v7, s[28:29]
	s_addc_u32 s21, s21, 0
	s_waitcnt vmcnt(0)
	v_and_b32_e32 v6, 0xffff, v6
	v_lshlrev_b64 v[18:19], s18, v[6:7]
	s_add_u32 s18, s18, 8
	s_addc_u32 s19, s19, 0
	s_cmp_lg_u32 s24, s20
	v_or_b32_e32 v16, v18, v16
	v_or_b32_e32 v17, v19, v17
	s_cbranch_scc1 .LBB3_65
.LBB3_66:                               ;   in Loop: Header=BB3_34 Depth=1
	s_mov_b32 s23, 0
	s_cbranch_execz .LBB3_68
	s_branch .LBB3_69
.LBB3_67:                               ;   in Loop: Header=BB3_34 Depth=1
                                        ; implicit-def: $sgpr23
.LBB3_68:                               ;   in Loop: Header=BB3_34 Depth=1
	global_load_dwordx2 v[16:17], v7, s[4:5]
	s_add_i32 s23, s24, -8
	s_add_u32 s4, s4, 8
	s_addc_u32 s5, s5, 0
.LBB3_69:                               ;   in Loop: Header=BB3_34 Depth=1
	s_cmp_gt_u32 s23, 7
	s_cbranch_scc1 .LBB3_74
; %bb.70:                               ;   in Loop: Header=BB3_34 Depth=1
	v_mov_b32_e32 v18, 0
	v_mov_b32_e32 v19, 0
	s_cmp_eq_u32 s23, 0
	s_cbranch_scc1 .LBB3_73
; %bb.71:                               ;   in Loop: Header=BB3_34 Depth=1
	s_mov_b64 s[18:19], 0
	s_mov_b64 s[20:21], 0
.LBB3_72:                               ;   Parent Loop BB3_34 Depth=1
                                        ; =>  This Inner Loop Header: Depth=2
	s_add_u32 s24, s4, s20
	s_addc_u32 s25, s5, s21
	s_add_u32 s20, s20, 1
	global_load_ubyte v6, v7, s[24:25]
	s_addc_u32 s21, s21, 0
	s_waitcnt vmcnt(0)
	v_and_b32_e32 v6, 0xffff, v6
	v_lshlrev_b64 v[20:21], s18, v[6:7]
	s_add_u32 s18, s18, 8
	s_addc_u32 s19, s19, 0
	s_cmp_lg_u32 s23, s20
	v_or_b32_e32 v18, v20, v18
	v_or_b32_e32 v19, v21, v19
	s_cbranch_scc1 .LBB3_72
.LBB3_73:                               ;   in Loop: Header=BB3_34 Depth=1
	s_mov_b32 s24, 0
	s_cbranch_execz .LBB3_75
	s_branch .LBB3_76
.LBB3_74:                               ;   in Loop: Header=BB3_34 Depth=1
                                        ; implicit-def: $vgpr18_vgpr19
                                        ; implicit-def: $sgpr24
.LBB3_75:                               ;   in Loop: Header=BB3_34 Depth=1
	global_load_dwordx2 v[18:19], v7, s[4:5]
	s_add_i32 s24, s23, -8
	s_add_u32 s4, s4, 8
	s_addc_u32 s5, s5, 0
.LBB3_76:                               ;   in Loop: Header=BB3_34 Depth=1
	s_cmp_gt_u32 s24, 7
	s_cbranch_scc1 .LBB3_81
; %bb.77:                               ;   in Loop: Header=BB3_34 Depth=1
	v_mov_b32_e32 v20, 0
	v_mov_b32_e32 v21, 0
	s_cmp_eq_u32 s24, 0
	s_cbranch_scc1 .LBB3_80
; %bb.78:                               ;   in Loop: Header=BB3_34 Depth=1
	s_mov_b64 s[18:19], 0
	s_mov_b64 s[20:21], s[4:5]
.LBB3_79:                               ;   Parent Loop BB3_34 Depth=1
                                        ; =>  This Inner Loop Header: Depth=2
	global_load_ubyte v6, v7, s[20:21]
	s_add_i32 s24, s24, -1
	s_waitcnt vmcnt(0)
	v_and_b32_e32 v6, 0xffff, v6
	v_lshlrev_b64 v[22:23], s18, v[6:7]
	s_add_u32 s18, s18, 8
	s_addc_u32 s19, s19, 0
	s_add_u32 s20, s20, 1
	s_addc_u32 s21, s21, 0
	s_cmp_lg_u32 s24, 0
	v_or_b32_e32 v20, v22, v20
	v_or_b32_e32 v21, v23, v21
	s_cbranch_scc1 .LBB3_79
.LBB3_80:                               ;   in Loop: Header=BB3_34 Depth=1
	s_cbranch_execz .LBB3_82
	s_branch .LBB3_83
.LBB3_81:                               ;   in Loop: Header=BB3_34 Depth=1
.LBB3_82:                               ;   in Loop: Header=BB3_34 Depth=1
	global_load_dwordx2 v[20:21], v7, s[4:5]
.LBB3_83:                               ;   in Loop: Header=BB3_34 Depth=1
	v_readfirstlane_b32 s4, v37
	v_mov_b32_e32 v26, 0
	v_mov_b32_e32 v27, 0
	v_cmp_eq_u32_e64 s4, s4, v37
	s_and_saveexec_b32 s5, s4
	s_cbranch_execz .LBB3_89
; %bb.84:                               ;   in Loop: Header=BB3_34 Depth=1
	global_load_dwordx2 v[24:25], v7, s[26:27] offset:24 glc dlc
	s_waitcnt vmcnt(0)
	buffer_gl1_inv
	buffer_gl0_inv
	s_clause 0x1
	global_load_dwordx2 v[22:23], v7, s[26:27] offset:40
	global_load_dwordx2 v[26:27], v7, s[26:27]
	s_mov_b32 s18, exec_lo
	s_waitcnt vmcnt(1)
	v_and_b32_e32 v6, v23, v25
	v_and_b32_e32 v22, v22, v24
	v_mul_lo_u32 v6, v6, 24
	v_mul_hi_u32 v23, v22, 24
	v_mul_lo_u32 v22, v22, 24
	v_add_nc_u32_e32 v6, v23, v6
	s_waitcnt vmcnt(0)
	v_add_co_u32 v22, vcc_lo, v26, v22
	v_add_co_ci_u32_e32 v23, vcc_lo, v27, v6, vcc_lo
	global_load_dwordx2 v[22:23], v[22:23], off glc dlc
	s_waitcnt vmcnt(0)
	global_atomic_cmpswap_x2 v[26:27], v7, v[22:25], s[26:27] offset:24 glc
	s_waitcnt vmcnt(0)
	buffer_gl1_inv
	buffer_gl0_inv
	v_cmpx_ne_u64_e64 v[26:27], v[24:25]
	s_cbranch_execz .LBB3_88
; %bb.85:                               ;   in Loop: Header=BB3_34 Depth=1
	s_mov_b32 s19, 0
	.p2align	6
.LBB3_86:                               ;   Parent Loop BB3_34 Depth=1
                                        ; =>  This Inner Loop Header: Depth=2
	s_sleep 1
	s_clause 0x1
	global_load_dwordx2 v[22:23], v7, s[26:27] offset:40
	global_load_dwordx2 v[29:30], v7, s[26:27]
	v_mov_b32_e32 v24, v26
	v_mov_b32_e32 v25, v27
	s_waitcnt vmcnt(1)
	v_and_b32_e32 v6, v22, v24
	v_and_b32_e32 v22, v23, v25
	s_waitcnt vmcnt(0)
	v_mad_u64_u32 v[26:27], null, v6, 24, v[29:30]
	v_mov_b32_e32 v6, v27
	v_mad_u64_u32 v[22:23], null, v22, 24, v[6:7]
	v_mov_b32_e32 v27, v22
	global_load_dwordx2 v[22:23], v[26:27], off glc dlc
	s_waitcnt vmcnt(0)
	global_atomic_cmpswap_x2 v[26:27], v7, v[22:25], s[26:27] offset:24 glc
	s_waitcnt vmcnt(0)
	buffer_gl1_inv
	buffer_gl0_inv
	v_cmp_eq_u64_e32 vcc_lo, v[26:27], v[24:25]
	s_or_b32 s19, vcc_lo, s19
	s_andn2_b32 exec_lo, exec_lo, s19
	s_cbranch_execnz .LBB3_86
; %bb.87:                               ;   in Loop: Header=BB3_34 Depth=1
	s_or_b32 exec_lo, exec_lo, s19
.LBB3_88:                               ;   in Loop: Header=BB3_34 Depth=1
	s_or_b32 exec_lo, exec_lo, s18
.LBB3_89:                               ;   in Loop: Header=BB3_34 Depth=1
	s_or_b32 exec_lo, exec_lo, s5
	s_clause 0x1
	global_load_dwordx2 v[29:30], v7, s[26:27] offset:40
	global_load_dwordx4 v[22:25], v7, s[26:27]
	v_readfirstlane_b32 s18, v26
	v_readfirstlane_b32 s19, v27
	s_mov_b32 s5, exec_lo
	s_waitcnt vmcnt(1)
	v_readfirstlane_b32 s20, v29
	v_readfirstlane_b32 s21, v30
	s_and_b64 s[20:21], s[18:19], s[20:21]
	s_mul_i32 s23, s21, 24
	s_mul_hi_u32 s24, s20, 24
	s_mul_i32 s25, s20, 24
	s_add_i32 s24, s24, s23
	s_waitcnt vmcnt(0)
	v_add_co_u32 v26, vcc_lo, v22, s25
	v_add_co_ci_u32_e32 v27, vcc_lo, s24, v23, vcc_lo
	s_and_saveexec_b32 s23, s4
	s_cbranch_execz .LBB3_91
; %bb.90:                               ;   in Loop: Header=BB3_34 Depth=1
	v_mov_b32_e32 v6, s5
	global_store_dwordx4 v[26:27], v[6:9], off offset:8
.LBB3_91:                               ;   in Loop: Header=BB3_34 Depth=1
	s_or_b32 exec_lo, exec_lo, s23
	s_lshl_b64 s[20:21], s[20:21], 12
	v_cmp_gt_u64_e64 vcc_lo, s[14:15], 56
	v_or_b32_e32 v29, v0, v28
	v_add_co_u32 v24, s5, v24, s20
	v_add_co_ci_u32_e64 v25, s5, s21, v25, s5
	s_lshl_b32 s5, s16, 2
	v_or_b32_e32 v6, 0, v1
	v_cndmask_b32_e32 v0, v29, v0, vcc_lo
	s_add_i32 s5, s5, 28
	v_readfirstlane_b32 s20, v24
	s_and_b32 s5, s5, 0x1e0
	v_cndmask_b32_e32 v1, v6, v1, vcc_lo
	v_readfirstlane_b32 s21, v25
	v_and_or_b32 v0, 0xffffff1f, v0, s5
	global_store_dwordx4 v36, v[0:3], s[20:21]
	global_store_dwordx4 v36, v[10:13], s[20:21] offset:16
	global_store_dwordx4 v36, v[14:17], s[20:21] offset:32
	;; [unrolled: 1-line block ×3, first 2 shown]
	s_and_saveexec_b32 s5, s4
	s_cbranch_execz .LBB3_99
; %bb.92:                               ;   in Loop: Header=BB3_34 Depth=1
	s_clause 0x1
	global_load_dwordx2 v[14:15], v7, s[26:27] offset:32 glc dlc
	global_load_dwordx2 v[0:1], v7, s[26:27] offset:40
	v_mov_b32_e32 v12, s18
	v_mov_b32_e32 v13, s19
	s_waitcnt vmcnt(0)
	v_readfirstlane_b32 s20, v0
	v_readfirstlane_b32 s21, v1
	s_and_b64 s[20:21], s[20:21], s[18:19]
	s_mul_i32 s21, s21, 24
	s_mul_hi_u32 s23, s20, 24
	s_mul_i32 s20, s20, 24
	s_add_i32 s23, s23, s21
	v_add_co_u32 v10, vcc_lo, v22, s20
	v_add_co_ci_u32_e32 v11, vcc_lo, s23, v23, vcc_lo
	s_mov_b32 s20, exec_lo
	global_store_dwordx2 v[10:11], v[14:15], off
	s_waitcnt_vscnt null, 0x0
	global_atomic_cmpswap_x2 v[2:3], v7, v[12:15], s[26:27] offset:32 glc
	s_waitcnt vmcnt(0)
	v_cmpx_ne_u64_e64 v[2:3], v[14:15]
	s_cbranch_execz .LBB3_95
; %bb.93:                               ;   in Loop: Header=BB3_34 Depth=1
	s_mov_b32 s21, 0
.LBB3_94:                               ;   Parent Loop BB3_34 Depth=1
                                        ; =>  This Inner Loop Header: Depth=2
	v_mov_b32_e32 v0, s18
	v_mov_b32_e32 v1, s19
	s_sleep 1
	global_store_dwordx2 v[10:11], v[2:3], off
	s_waitcnt_vscnt null, 0x0
	global_atomic_cmpswap_x2 v[0:1], v7, v[0:3], s[26:27] offset:32 glc
	s_waitcnt vmcnt(0)
	v_cmp_eq_u64_e32 vcc_lo, v[0:1], v[2:3]
	v_mov_b32_e32 v3, v1
	v_mov_b32_e32 v2, v0
	s_or_b32 s21, vcc_lo, s21
	s_andn2_b32 exec_lo, exec_lo, s21
	s_cbranch_execnz .LBB3_94
.LBB3_95:                               ;   in Loop: Header=BB3_34 Depth=1
	s_or_b32 exec_lo, exec_lo, s20
	global_load_dwordx2 v[0:1], v7, s[26:27] offset:16
	s_mov_b32 s21, exec_lo
	s_mov_b32 s20, exec_lo
	v_mbcnt_lo_u32_b32 v2, s21, 0
	v_cmpx_eq_u32_e32 0, v2
	s_cbranch_execz .LBB3_97
; %bb.96:                               ;   in Loop: Header=BB3_34 Depth=1
	s_bcnt1_i32_b32 s21, s21
	v_mov_b32_e32 v6, s21
	s_waitcnt vmcnt(0)
	global_atomic_add_x2 v[0:1], v[6:7], off offset:8
.LBB3_97:                               ;   in Loop: Header=BB3_34 Depth=1
	s_or_b32 exec_lo, exec_lo, s20
	s_waitcnt vmcnt(0)
	global_load_dwordx2 v[2:3], v[0:1], off offset:16
	s_waitcnt vmcnt(0)
	v_cmp_eq_u64_e32 vcc_lo, 0, v[2:3]
	s_cbranch_vccnz .LBB3_99
; %bb.98:                               ;   in Loop: Header=BB3_34 Depth=1
	global_load_dword v6, v[0:1], off offset:24
	s_waitcnt vmcnt(0)
	v_and_b32_e32 v0, 0x7fffff, v6
	s_waitcnt_vscnt null, 0x0
	global_store_dwordx2 v[2:3], v[6:7], off
	v_readfirstlane_b32 m0, v0
	s_sendmsg sendmsg(MSG_INTERRUPT)
.LBB3_99:                               ;   in Loop: Header=BB3_34 Depth=1
	s_or_b32 exec_lo, exec_lo, s5
	v_add_co_u32 v0, vcc_lo, v24, v36
	v_add_co_ci_u32_e32 v1, vcc_lo, 0, v25, vcc_lo
	s_branch .LBB3_103
	.p2align	6
.LBB3_100:                              ;   in Loop: Header=BB3_103 Depth=2
	s_or_b32 exec_lo, exec_lo, s5
	v_readfirstlane_b32 s5, v2
	s_cmp_eq_u32 s5, 0
	s_cbranch_scc1 .LBB3_102
; %bb.101:                              ;   in Loop: Header=BB3_103 Depth=2
	s_sleep 1
	s_cbranch_execnz .LBB3_103
	s_branch .LBB3_105
	.p2align	6
.LBB3_102:                              ;   in Loop: Header=BB3_34 Depth=1
	s_branch .LBB3_105
.LBB3_103:                              ;   Parent Loop BB3_34 Depth=1
                                        ; =>  This Inner Loop Header: Depth=2
	v_mov_b32_e32 v2, 1
	s_and_saveexec_b32 s5, s4
	s_cbranch_execz .LBB3_100
; %bb.104:                              ;   in Loop: Header=BB3_103 Depth=2
	global_load_dword v2, v[26:27], off offset:20 glc dlc
	s_waitcnt vmcnt(0)
	buffer_gl1_inv
	buffer_gl0_inv
	v_and_b32_e32 v2, 1, v2
	s_branch .LBB3_100
.LBB3_105:                              ;   in Loop: Header=BB3_34 Depth=1
	global_load_dwordx4 v[0:3], v[0:1], off
	s_and_saveexec_b32 s5, s4
	s_cbranch_execz .LBB3_33
; %bb.106:                              ;   in Loop: Header=BB3_34 Depth=1
	s_clause 0x2
	global_load_dwordx2 v[2:3], v7, s[26:27] offset:40
	global_load_dwordx2 v[14:15], v7, s[26:27] offset:24 glc dlc
	global_load_dwordx2 v[12:13], v7, s[26:27]
	s_waitcnt vmcnt(2)
	v_add_co_u32 v6, vcc_lo, v2, 1
	v_add_co_ci_u32_e32 v16, vcc_lo, 0, v3, vcc_lo
	v_add_co_u32 v10, vcc_lo, v6, s18
	v_add_co_ci_u32_e32 v11, vcc_lo, s19, v16, vcc_lo
	v_cmp_eq_u64_e32 vcc_lo, 0, v[10:11]
	v_cndmask_b32_e32 v11, v11, v16, vcc_lo
	v_cndmask_b32_e32 v10, v10, v6, vcc_lo
	v_and_b32_e32 v3, v11, v3
	v_and_b32_e32 v2, v10, v2
	v_mul_lo_u32 v3, v3, 24
	v_mul_hi_u32 v6, v2, 24
	v_mul_lo_u32 v2, v2, 24
	v_add_nc_u32_e32 v3, v6, v3
	s_waitcnt vmcnt(0)
	v_add_co_u32 v2, vcc_lo, v12, v2
	v_mov_b32_e32 v12, v14
	v_add_co_ci_u32_e32 v3, vcc_lo, v13, v3, vcc_lo
	v_mov_b32_e32 v13, v15
	global_store_dwordx2 v[2:3], v[14:15], off
	s_waitcnt_vscnt null, 0x0
	global_atomic_cmpswap_x2 v[12:13], v7, v[10:13], s[26:27] offset:24 glc
	s_waitcnt vmcnt(0)
	v_cmp_ne_u64_e32 vcc_lo, v[12:13], v[14:15]
	s_and_b32 exec_lo, exec_lo, vcc_lo
	s_cbranch_execz .LBB3_33
; %bb.107:                              ;   in Loop: Header=BB3_34 Depth=1
	s_mov_b32 s4, 0
.LBB3_108:                              ;   Parent Loop BB3_34 Depth=1
                                        ; =>  This Inner Loop Header: Depth=2
	s_sleep 1
	global_store_dwordx2 v[2:3], v[12:13], off
	s_waitcnt_vscnt null, 0x0
	global_atomic_cmpswap_x2 v[14:15], v7, v[10:13], s[26:27] offset:24 glc
	s_waitcnt vmcnt(0)
	v_cmp_eq_u64_e32 vcc_lo, v[14:15], v[12:13]
	v_mov_b32_e32 v12, v14
	v_mov_b32_e32 v13, v15
	s_or_b32 s4, vcc_lo, s4
	s_andn2_b32 exec_lo, exec_lo, s4
	s_cbranch_execnz .LBB3_108
	s_branch .LBB3_33
.LBB3_109:
	s_branch .LBB3_138
.LBB3_110:
                                        ; implicit-def: $vgpr0_vgpr1
	s_cbranch_execz .LBB3_138
; %bb.111:
	v_readfirstlane_b32 s4, v37
	v_mov_b32_e32 v7, 0
	v_mov_b32_e32 v8, 0
	v_cmp_eq_u32_e64 s4, s4, v37
	s_and_saveexec_b32 s5, s4
	s_cbranch_execz .LBB3_117
; %bb.112:
	s_waitcnt vmcnt(0)
	v_mov_b32_e32 v0, 0
	s_mov_b32 s8, exec_lo
	global_load_dwordx2 v[9:10], v0, s[26:27] offset:24 glc dlc
	s_waitcnt vmcnt(0)
	buffer_gl1_inv
	buffer_gl0_inv
	s_clause 0x1
	global_load_dwordx2 v[1:2], v0, s[26:27] offset:40
	global_load_dwordx2 v[6:7], v0, s[26:27]
	s_waitcnt vmcnt(1)
	v_and_b32_e32 v2, v2, v10
	v_and_b32_e32 v1, v1, v9
	v_mul_lo_u32 v2, v2, 24
	v_mul_hi_u32 v3, v1, 24
	v_mul_lo_u32 v1, v1, 24
	v_add_nc_u32_e32 v2, v3, v2
	s_waitcnt vmcnt(0)
	v_add_co_u32 v1, vcc_lo, v6, v1
	v_add_co_ci_u32_e32 v2, vcc_lo, v7, v2, vcc_lo
	global_load_dwordx2 v[7:8], v[1:2], off glc dlc
	s_waitcnt vmcnt(0)
	global_atomic_cmpswap_x2 v[7:8], v0, v[7:10], s[26:27] offset:24 glc
	s_waitcnt vmcnt(0)
	buffer_gl1_inv
	buffer_gl0_inv
	v_cmpx_ne_u64_e64 v[7:8], v[9:10]
	s_cbranch_execz .LBB3_116
; %bb.113:
	s_mov_b32 s9, 0
	.p2align	6
.LBB3_114:                              ; =>This Inner Loop Header: Depth=1
	s_sleep 1
	s_clause 0x1
	global_load_dwordx2 v[1:2], v0, s[26:27] offset:40
	global_load_dwordx2 v[11:12], v0, s[26:27]
	v_mov_b32_e32 v10, v8
	v_mov_b32_e32 v9, v7
	s_waitcnt vmcnt(1)
	v_and_b32_e32 v1, v1, v9
	v_and_b32_e32 v2, v2, v10
	s_waitcnt vmcnt(0)
	v_mad_u64_u32 v[6:7], null, v1, 24, v[11:12]
	v_mov_b32_e32 v1, v7
	v_mad_u64_u32 v[1:2], null, v2, 24, v[1:2]
	v_mov_b32_e32 v7, v1
	global_load_dwordx2 v[7:8], v[6:7], off glc dlc
	s_waitcnt vmcnt(0)
	global_atomic_cmpswap_x2 v[7:8], v0, v[7:10], s[26:27] offset:24 glc
	s_waitcnt vmcnt(0)
	buffer_gl1_inv
	buffer_gl0_inv
	v_cmp_eq_u64_e32 vcc_lo, v[7:8], v[9:10]
	s_or_b32 s9, vcc_lo, s9
	s_andn2_b32 exec_lo, exec_lo, s9
	s_cbranch_execnz .LBB3_114
; %bb.115:
	s_or_b32 exec_lo, exec_lo, s9
.LBB3_116:
	s_or_b32 exec_lo, exec_lo, s8
.LBB3_117:
	s_or_b32 exec_lo, exec_lo, s5
	v_mov_b32_e32 v6, 0
	v_readfirstlane_b32 s8, v7
	v_readfirstlane_b32 s9, v8
	s_mov_b32 s5, exec_lo
	s_clause 0x1
	global_load_dwordx2 v[9:10], v6, s[26:27] offset:40
	global_load_dwordx4 v[0:3], v6, s[26:27]
	s_waitcnt vmcnt(1)
	v_readfirstlane_b32 s14, v9
	v_readfirstlane_b32 s15, v10
	s_and_b64 s[14:15], s[8:9], s[14:15]
	s_mul_i32 s16, s15, 24
	s_mul_hi_u32 s17, s14, 24
	s_mul_i32 s18, s14, 24
	s_add_i32 s17, s17, s16
	s_waitcnt vmcnt(0)
	v_add_co_u32 v8, vcc_lo, v0, s18
	v_add_co_ci_u32_e32 v9, vcc_lo, s17, v1, vcc_lo
	s_and_saveexec_b32 s16, s4
	s_cbranch_execz .LBB3_119
; %bb.118:
	v_mov_b32_e32 v10, s5
	v_mov_b32_e32 v11, v6
	;; [unrolled: 1-line block ×4, first 2 shown]
	global_store_dwordx4 v[8:9], v[10:13], off offset:8
.LBB3_119:
	s_or_b32 exec_lo, exec_lo, s16
	s_lshl_b64 s[14:15], s[14:15], 12
	s_mov_b32 s16, 0
	v_add_co_u32 v2, vcc_lo, v2, s14
	v_add_co_ci_u32_e32 v3, vcc_lo, s15, v3, vcc_lo
	s_mov_b32 s17, s16
	v_add_co_u32 v10, vcc_lo, v2, v36
	s_mov_b32 s18, s16
	s_mov_b32 s19, s16
	v_and_or_b32 v4, 0xffffff1f, v4, 32
	v_mov_b32_e32 v7, v6
	v_readfirstlane_b32 s14, v2
	v_readfirstlane_b32 s15, v3
	v_mov_b32_e32 v12, s16
	v_add_co_ci_u32_e32 v11, vcc_lo, 0, v3, vcc_lo
	v_mov_b32_e32 v13, s17
	v_mov_b32_e32 v14, s18
	;; [unrolled: 1-line block ×3, first 2 shown]
	global_store_dwordx4 v36, v[4:7], s[14:15]
	global_store_dwordx4 v36, v[12:15], s[14:15] offset:16
	global_store_dwordx4 v36, v[12:15], s[14:15] offset:32
	;; [unrolled: 1-line block ×3, first 2 shown]
	s_and_saveexec_b32 s5, s4
	s_cbranch_execz .LBB3_127
; %bb.120:
	v_mov_b32_e32 v6, 0
	v_mov_b32_e32 v12, s8
	;; [unrolled: 1-line block ×3, first 2 shown]
	s_clause 0x1
	global_load_dwordx2 v[14:15], v6, s[26:27] offset:32 glc dlc
	global_load_dwordx2 v[2:3], v6, s[26:27] offset:40
	s_waitcnt vmcnt(0)
	v_readfirstlane_b32 s14, v2
	v_readfirstlane_b32 s15, v3
	s_and_b64 s[14:15], s[14:15], s[8:9]
	s_mul_i32 s15, s15, 24
	s_mul_hi_u32 s16, s14, 24
	s_mul_i32 s14, s14, 24
	s_add_i32 s16, s16, s15
	v_add_co_u32 v4, vcc_lo, v0, s14
	v_add_co_ci_u32_e32 v5, vcc_lo, s16, v1, vcc_lo
	s_mov_b32 s14, exec_lo
	global_store_dwordx2 v[4:5], v[14:15], off
	s_waitcnt_vscnt null, 0x0
	global_atomic_cmpswap_x2 v[2:3], v6, v[12:15], s[26:27] offset:32 glc
	s_waitcnt vmcnt(0)
	v_cmpx_ne_u64_e64 v[2:3], v[14:15]
	s_cbranch_execz .LBB3_123
; %bb.121:
	s_mov_b32 s15, 0
.LBB3_122:                              ; =>This Inner Loop Header: Depth=1
	v_mov_b32_e32 v0, s8
	v_mov_b32_e32 v1, s9
	s_sleep 1
	global_store_dwordx2 v[4:5], v[2:3], off
	s_waitcnt_vscnt null, 0x0
	global_atomic_cmpswap_x2 v[0:1], v6, v[0:3], s[26:27] offset:32 glc
	s_waitcnt vmcnt(0)
	v_cmp_eq_u64_e32 vcc_lo, v[0:1], v[2:3]
	v_mov_b32_e32 v3, v1
	v_mov_b32_e32 v2, v0
	s_or_b32 s15, vcc_lo, s15
	s_andn2_b32 exec_lo, exec_lo, s15
	s_cbranch_execnz .LBB3_122
.LBB3_123:
	s_or_b32 exec_lo, exec_lo, s14
	v_mov_b32_e32 v3, 0
	s_mov_b32 s15, exec_lo
	s_mov_b32 s14, exec_lo
	v_mbcnt_lo_u32_b32 v2, s15, 0
	global_load_dwordx2 v[0:1], v3, s[26:27] offset:16
	v_cmpx_eq_u32_e32 0, v2
	s_cbranch_execz .LBB3_125
; %bb.124:
	s_bcnt1_i32_b32 s15, s15
	v_mov_b32_e32 v2, s15
	s_waitcnt vmcnt(0)
	global_atomic_add_x2 v[0:1], v[2:3], off offset:8
.LBB3_125:
	s_or_b32 exec_lo, exec_lo, s14
	s_waitcnt vmcnt(0)
	global_load_dwordx2 v[2:3], v[0:1], off offset:16
	s_waitcnt vmcnt(0)
	v_cmp_eq_u64_e32 vcc_lo, 0, v[2:3]
	s_cbranch_vccnz .LBB3_127
; %bb.126:
	global_load_dword v0, v[0:1], off offset:24
	v_mov_b32_e32 v1, 0
	s_waitcnt vmcnt(0)
	v_and_b32_e32 v4, 0x7fffff, v0
	s_waitcnt_vscnt null, 0x0
	global_store_dwordx2 v[2:3], v[0:1], off
	v_readfirstlane_b32 m0, v4
	s_sendmsg sendmsg(MSG_INTERRUPT)
.LBB3_127:
	s_or_b32 exec_lo, exec_lo, s5
	s_branch .LBB3_131
	.p2align	6
.LBB3_128:                              ;   in Loop: Header=BB3_131 Depth=1
	s_or_b32 exec_lo, exec_lo, s5
	v_readfirstlane_b32 s5, v0
	s_cmp_eq_u32 s5, 0
	s_cbranch_scc1 .LBB3_130
; %bb.129:                              ;   in Loop: Header=BB3_131 Depth=1
	s_sleep 1
	s_cbranch_execnz .LBB3_131
	s_branch .LBB3_133
	.p2align	6
.LBB3_130:
	s_branch .LBB3_133
.LBB3_131:                              ; =>This Inner Loop Header: Depth=1
	v_mov_b32_e32 v0, 1
	s_and_saveexec_b32 s5, s4
	s_cbranch_execz .LBB3_128
; %bb.132:                              ;   in Loop: Header=BB3_131 Depth=1
	global_load_dword v0, v[8:9], off offset:20 glc dlc
	s_waitcnt vmcnt(0)
	buffer_gl1_inv
	buffer_gl0_inv
	v_and_b32_e32 v0, 1, v0
	s_branch .LBB3_128
.LBB3_133:
	global_load_dwordx2 v[0:1], v[10:11], off
	s_and_saveexec_b32 s5, s4
	s_cbranch_execz .LBB3_137
; %bb.134:
	v_mov_b32_e32 v8, 0
	s_clause 0x2
	global_load_dwordx2 v[4:5], v8, s[26:27] offset:40
	global_load_dwordx2 v[9:10], v8, s[26:27] offset:24 glc dlc
	global_load_dwordx2 v[6:7], v8, s[26:27]
	s_waitcnt vmcnt(2)
	v_add_co_u32 v11, vcc_lo, v4, 1
	v_add_co_ci_u32_e32 v12, vcc_lo, 0, v5, vcc_lo
	v_add_co_u32 v2, vcc_lo, v11, s8
	v_add_co_ci_u32_e32 v3, vcc_lo, s9, v12, vcc_lo
	v_cmp_eq_u64_e32 vcc_lo, 0, v[2:3]
	v_cndmask_b32_e32 v3, v3, v12, vcc_lo
	v_cndmask_b32_e32 v2, v2, v11, vcc_lo
	v_and_b32_e32 v5, v3, v5
	v_and_b32_e32 v4, v2, v4
	v_mul_lo_u32 v5, v5, 24
	v_mul_hi_u32 v11, v4, 24
	v_mul_lo_u32 v4, v4, 24
	v_add_nc_u32_e32 v5, v11, v5
	s_waitcnt vmcnt(0)
	v_add_co_u32 v6, vcc_lo, v6, v4
	v_mov_b32_e32 v4, v9
	v_add_co_ci_u32_e32 v7, vcc_lo, v7, v5, vcc_lo
	v_mov_b32_e32 v5, v10
	global_store_dwordx2 v[6:7], v[9:10], off
	s_waitcnt_vscnt null, 0x0
	global_atomic_cmpswap_x2 v[4:5], v8, v[2:5], s[26:27] offset:24 glc
	s_waitcnt vmcnt(0)
	v_cmp_ne_u64_e32 vcc_lo, v[4:5], v[9:10]
	s_and_b32 exec_lo, exec_lo, vcc_lo
	s_cbranch_execz .LBB3_137
; %bb.135:
	s_mov_b32 s4, 0
.LBB3_136:                              ; =>This Inner Loop Header: Depth=1
	s_sleep 1
	global_store_dwordx2 v[6:7], v[4:5], off
	s_waitcnt_vscnt null, 0x0
	global_atomic_cmpswap_x2 v[9:10], v8, v[2:5], s[26:27] offset:24 glc
	s_waitcnt vmcnt(0)
	v_cmp_eq_u64_e32 vcc_lo, v[9:10], v[4:5]
	v_mov_b32_e32 v4, v9
	v_mov_b32_e32 v5, v10
	s_or_b32 s4, vcc_lo, s4
	s_andn2_b32 exec_lo, exec_lo, s4
	s_cbranch_execnz .LBB3_136
.LBB3_137:
	s_or_b32 exec_lo, exec_lo, s5
.LBB3_138:
	s_getpc_b64 s[8:9]
	s_add_u32 s8, s8, __PRETTY_FUNCTION__._ZL10equal_trueRN8migraphx4test12test_managerE@rel32@lo+4
	s_addc_u32 s9, s9, __PRETTY_FUNCTION__._ZL10equal_trueRN8migraphx4test12test_managerE@rel32@hi+12
	s_cmp_lg_u64 s[8:9], 0
	s_cbranch_scc0 .LBB3_217
; %bb.139:
	s_waitcnt vmcnt(0)
	v_and_b32_e32 v6, -3, v0
	v_mov_b32_e32 v7, v1
	v_mov_b32_e32 v3, 0
	;; [unrolled: 1-line block ×4, first 2 shown]
	s_mov_b64 s[14:15], 48
	s_branch .LBB3_141
.LBB3_140:                              ;   in Loop: Header=BB3_141 Depth=1
	s_or_b32 exec_lo, exec_lo, s5
	s_sub_u32 s14, s14, s16
	s_subb_u32 s15, s15, s17
	s_add_u32 s8, s8, s16
	s_addc_u32 s9, s9, s17
	s_cmp_lg_u64 s[14:15], 0
	s_cbranch_scc0 .LBB3_216
.LBB3_141:                              ; =>This Loop Header: Depth=1
                                        ;     Child Loop BB3_150 Depth 2
                                        ;     Child Loop BB3_146 Depth 2
	;; [unrolled: 1-line block ×11, first 2 shown]
	v_cmp_lt_u64_e64 s4, s[14:15], 56
	v_cmp_gt_u64_e64 s5, s[14:15], 7
                                        ; implicit-def: $sgpr23
	s_and_b32 s4, s4, exec_lo
	s_cselect_b32 s17, s15, 0
	s_cselect_b32 s16, s14, 56
	s_and_b32 vcc_lo, exec_lo, s5
	s_mov_b32 s4, -1
	s_cbranch_vccz .LBB3_148
; %bb.142:                              ;   in Loop: Header=BB3_141 Depth=1
	s_andn2_b32 vcc_lo, exec_lo, s4
	s_mov_b64 s[4:5], s[8:9]
	s_cbranch_vccz .LBB3_152
.LBB3_143:                              ;   in Loop: Header=BB3_141 Depth=1
	s_cmp_gt_u32 s23, 7
	s_cbranch_scc1 .LBB3_153
.LBB3_144:                              ;   in Loop: Header=BB3_141 Depth=1
	v_mov_b32_e32 v10, 0
	v_mov_b32_e32 v11, 0
	s_cmp_eq_u32 s23, 0
	s_cbranch_scc1 .LBB3_147
; %bb.145:                              ;   in Loop: Header=BB3_141 Depth=1
	s_mov_b64 s[18:19], 0
	s_mov_b64 s[20:21], 0
.LBB3_146:                              ;   Parent Loop BB3_141 Depth=1
                                        ; =>  This Inner Loop Header: Depth=2
	s_add_u32 s24, s4, s20
	s_addc_u32 s25, s5, s21
	s_add_u32 s20, s20, 1
	global_load_ubyte v2, v3, s[24:25]
	s_addc_u32 s21, s21, 0
	s_waitcnt vmcnt(0)
	v_and_b32_e32 v2, 0xffff, v2
	v_lshlrev_b64 v[12:13], s18, v[2:3]
	s_add_u32 s18, s18, 8
	s_addc_u32 s19, s19, 0
	s_cmp_lg_u32 s23, s20
	v_or_b32_e32 v10, v12, v10
	v_or_b32_e32 v11, v13, v11
	s_cbranch_scc1 .LBB3_146
.LBB3_147:                              ;   in Loop: Header=BB3_141 Depth=1
	s_mov_b32 s24, 0
	s_cbranch_execz .LBB3_154
	s_branch .LBB3_155
.LBB3_148:                              ;   in Loop: Header=BB3_141 Depth=1
	s_waitcnt vmcnt(0)
	v_mov_b32_e32 v8, 0
	v_mov_b32_e32 v9, 0
	s_cmp_eq_u64 s[14:15], 0
	s_mov_b64 s[4:5], 0
	s_cbranch_scc1 .LBB3_151
; %bb.149:                              ;   in Loop: Header=BB3_141 Depth=1
	v_mov_b32_e32 v8, 0
	v_mov_b32_e32 v9, 0
	s_lshl_b64 s[18:19], s[16:17], 3
	s_mov_b64 s[20:21], s[8:9]
.LBB3_150:                              ;   Parent Loop BB3_141 Depth=1
                                        ; =>  This Inner Loop Header: Depth=2
	global_load_ubyte v2, v3, s[20:21]
	s_waitcnt vmcnt(0)
	v_and_b32_e32 v2, 0xffff, v2
	v_lshlrev_b64 v[10:11], s4, v[2:3]
	s_add_u32 s4, s4, 8
	s_addc_u32 s5, s5, 0
	s_add_u32 s20, s20, 1
	s_addc_u32 s21, s21, 0
	s_cmp_lg_u32 s18, s4
	v_or_b32_e32 v8, v10, v8
	v_or_b32_e32 v9, v11, v9
	s_cbranch_scc1 .LBB3_150
.LBB3_151:                              ;   in Loop: Header=BB3_141 Depth=1
	s_mov_b32 s23, 0
	s_mov_b64 s[4:5], s[8:9]
	s_cbranch_execnz .LBB3_143
.LBB3_152:                              ;   in Loop: Header=BB3_141 Depth=1
	global_load_dwordx2 v[8:9], v3, s[8:9]
	s_add_i32 s23, s16, -8
	s_add_u32 s4, s8, 8
	s_addc_u32 s5, s9, 0
	s_cmp_gt_u32 s23, 7
	s_cbranch_scc0 .LBB3_144
.LBB3_153:                              ;   in Loop: Header=BB3_141 Depth=1
                                        ; implicit-def: $vgpr10_vgpr11
                                        ; implicit-def: $sgpr24
.LBB3_154:                              ;   in Loop: Header=BB3_141 Depth=1
	global_load_dwordx2 v[10:11], v3, s[4:5]
	s_add_i32 s24, s23, -8
	s_add_u32 s4, s4, 8
	s_addc_u32 s5, s5, 0
.LBB3_155:                              ;   in Loop: Header=BB3_141 Depth=1
	s_cmp_gt_u32 s24, 7
	s_cbranch_scc1 .LBB3_160
; %bb.156:                              ;   in Loop: Header=BB3_141 Depth=1
	v_mov_b32_e32 v12, 0
	v_mov_b32_e32 v13, 0
	s_cmp_eq_u32 s24, 0
	s_cbranch_scc1 .LBB3_159
; %bb.157:                              ;   in Loop: Header=BB3_141 Depth=1
	s_mov_b64 s[18:19], 0
	s_mov_b64 s[20:21], 0
.LBB3_158:                              ;   Parent Loop BB3_141 Depth=1
                                        ; =>  This Inner Loop Header: Depth=2
	s_add_u32 s28, s4, s20
	s_addc_u32 s29, s5, s21
	s_add_u32 s20, s20, 1
	global_load_ubyte v2, v3, s[28:29]
	s_addc_u32 s21, s21, 0
	s_waitcnt vmcnt(0)
	v_and_b32_e32 v2, 0xffff, v2
	v_lshlrev_b64 v[14:15], s18, v[2:3]
	s_add_u32 s18, s18, 8
	s_addc_u32 s19, s19, 0
	s_cmp_lg_u32 s24, s20
	v_or_b32_e32 v12, v14, v12
	v_or_b32_e32 v13, v15, v13
	s_cbranch_scc1 .LBB3_158
.LBB3_159:                              ;   in Loop: Header=BB3_141 Depth=1
	s_mov_b32 s23, 0
	s_cbranch_execz .LBB3_161
	s_branch .LBB3_162
.LBB3_160:                              ;   in Loop: Header=BB3_141 Depth=1
                                        ; implicit-def: $sgpr23
.LBB3_161:                              ;   in Loop: Header=BB3_141 Depth=1
	global_load_dwordx2 v[12:13], v3, s[4:5]
	s_add_i32 s23, s24, -8
	s_add_u32 s4, s4, 8
	s_addc_u32 s5, s5, 0
.LBB3_162:                              ;   in Loop: Header=BB3_141 Depth=1
	s_cmp_gt_u32 s23, 7
	s_cbranch_scc1 .LBB3_167
; %bb.163:                              ;   in Loop: Header=BB3_141 Depth=1
	v_mov_b32_e32 v14, 0
	v_mov_b32_e32 v15, 0
	s_cmp_eq_u32 s23, 0
	s_cbranch_scc1 .LBB3_166
; %bb.164:                              ;   in Loop: Header=BB3_141 Depth=1
	s_mov_b64 s[18:19], 0
	s_mov_b64 s[20:21], 0
.LBB3_165:                              ;   Parent Loop BB3_141 Depth=1
                                        ; =>  This Inner Loop Header: Depth=2
	s_add_u32 s24, s4, s20
	s_addc_u32 s25, s5, s21
	s_add_u32 s20, s20, 1
	global_load_ubyte v2, v3, s[24:25]
	s_addc_u32 s21, s21, 0
	s_waitcnt vmcnt(0)
	v_and_b32_e32 v2, 0xffff, v2
	v_lshlrev_b64 v[16:17], s18, v[2:3]
	s_add_u32 s18, s18, 8
	s_addc_u32 s19, s19, 0
	s_cmp_lg_u32 s23, s20
	v_or_b32_e32 v14, v16, v14
	v_or_b32_e32 v15, v17, v15
	s_cbranch_scc1 .LBB3_165
.LBB3_166:                              ;   in Loop: Header=BB3_141 Depth=1
	s_mov_b32 s24, 0
	s_cbranch_execz .LBB3_168
	s_branch .LBB3_169
.LBB3_167:                              ;   in Loop: Header=BB3_141 Depth=1
                                        ; implicit-def: $vgpr14_vgpr15
                                        ; implicit-def: $sgpr24
.LBB3_168:                              ;   in Loop: Header=BB3_141 Depth=1
	global_load_dwordx2 v[14:15], v3, s[4:5]
	s_add_i32 s24, s23, -8
	s_add_u32 s4, s4, 8
	s_addc_u32 s5, s5, 0
.LBB3_169:                              ;   in Loop: Header=BB3_141 Depth=1
	s_cmp_gt_u32 s24, 7
	s_cbranch_scc1 .LBB3_174
; %bb.170:                              ;   in Loop: Header=BB3_141 Depth=1
	v_mov_b32_e32 v16, 0
	v_mov_b32_e32 v17, 0
	s_cmp_eq_u32 s24, 0
	s_cbranch_scc1 .LBB3_173
; %bb.171:                              ;   in Loop: Header=BB3_141 Depth=1
	s_mov_b64 s[18:19], 0
	s_mov_b64 s[20:21], 0
.LBB3_172:                              ;   Parent Loop BB3_141 Depth=1
                                        ; =>  This Inner Loop Header: Depth=2
	s_add_u32 s28, s4, s20
	s_addc_u32 s29, s5, s21
	s_add_u32 s20, s20, 1
	global_load_ubyte v2, v3, s[28:29]
	s_addc_u32 s21, s21, 0
	s_waitcnt vmcnt(0)
	v_and_b32_e32 v2, 0xffff, v2
	v_lshlrev_b64 v[18:19], s18, v[2:3]
	s_add_u32 s18, s18, 8
	s_addc_u32 s19, s19, 0
	s_cmp_lg_u32 s24, s20
	v_or_b32_e32 v16, v18, v16
	v_or_b32_e32 v17, v19, v17
	s_cbranch_scc1 .LBB3_172
.LBB3_173:                              ;   in Loop: Header=BB3_141 Depth=1
	s_mov_b32 s23, 0
	s_cbranch_execz .LBB3_175
	s_branch .LBB3_176
.LBB3_174:                              ;   in Loop: Header=BB3_141 Depth=1
                                        ; implicit-def: $sgpr23
.LBB3_175:                              ;   in Loop: Header=BB3_141 Depth=1
	global_load_dwordx2 v[16:17], v3, s[4:5]
	s_add_i32 s23, s24, -8
	s_add_u32 s4, s4, 8
	s_addc_u32 s5, s5, 0
.LBB3_176:                              ;   in Loop: Header=BB3_141 Depth=1
	s_cmp_gt_u32 s23, 7
	s_cbranch_scc1 .LBB3_181
; %bb.177:                              ;   in Loop: Header=BB3_141 Depth=1
	v_mov_b32_e32 v18, 0
	v_mov_b32_e32 v19, 0
	s_cmp_eq_u32 s23, 0
	s_cbranch_scc1 .LBB3_180
; %bb.178:                              ;   in Loop: Header=BB3_141 Depth=1
	s_mov_b64 s[18:19], 0
	s_mov_b64 s[20:21], 0
.LBB3_179:                              ;   Parent Loop BB3_141 Depth=1
                                        ; =>  This Inner Loop Header: Depth=2
	s_add_u32 s24, s4, s20
	s_addc_u32 s25, s5, s21
	s_add_u32 s20, s20, 1
	global_load_ubyte v2, v3, s[24:25]
	s_addc_u32 s21, s21, 0
	s_waitcnt vmcnt(0)
	v_and_b32_e32 v2, 0xffff, v2
	v_lshlrev_b64 v[20:21], s18, v[2:3]
	s_add_u32 s18, s18, 8
	s_addc_u32 s19, s19, 0
	s_cmp_lg_u32 s23, s20
	v_or_b32_e32 v18, v20, v18
	v_or_b32_e32 v19, v21, v19
	s_cbranch_scc1 .LBB3_179
.LBB3_180:                              ;   in Loop: Header=BB3_141 Depth=1
	s_mov_b32 s24, 0
	s_cbranch_execz .LBB3_182
	s_branch .LBB3_183
.LBB3_181:                              ;   in Loop: Header=BB3_141 Depth=1
                                        ; implicit-def: $vgpr18_vgpr19
                                        ; implicit-def: $sgpr24
.LBB3_182:                              ;   in Loop: Header=BB3_141 Depth=1
	global_load_dwordx2 v[18:19], v3, s[4:5]
	s_add_i32 s24, s23, -8
	s_add_u32 s4, s4, 8
	s_addc_u32 s5, s5, 0
.LBB3_183:                              ;   in Loop: Header=BB3_141 Depth=1
	s_cmp_gt_u32 s24, 7
	s_cbranch_scc1 .LBB3_188
; %bb.184:                              ;   in Loop: Header=BB3_141 Depth=1
	v_mov_b32_e32 v20, 0
	v_mov_b32_e32 v21, 0
	s_cmp_eq_u32 s24, 0
	s_cbranch_scc1 .LBB3_187
; %bb.185:                              ;   in Loop: Header=BB3_141 Depth=1
	s_mov_b64 s[18:19], 0
	s_mov_b64 s[20:21], s[4:5]
.LBB3_186:                              ;   Parent Loop BB3_141 Depth=1
                                        ; =>  This Inner Loop Header: Depth=2
	global_load_ubyte v2, v3, s[20:21]
	s_add_i32 s24, s24, -1
	s_waitcnt vmcnt(0)
	v_and_b32_e32 v2, 0xffff, v2
	v_lshlrev_b64 v[22:23], s18, v[2:3]
	s_add_u32 s18, s18, 8
	s_addc_u32 s19, s19, 0
	s_add_u32 s20, s20, 1
	s_addc_u32 s21, s21, 0
	s_cmp_lg_u32 s24, 0
	v_or_b32_e32 v20, v22, v20
	v_or_b32_e32 v21, v23, v21
	s_cbranch_scc1 .LBB3_186
.LBB3_187:                              ;   in Loop: Header=BB3_141 Depth=1
	s_cbranch_execz .LBB3_189
	s_branch .LBB3_190
.LBB3_188:                              ;   in Loop: Header=BB3_141 Depth=1
.LBB3_189:                              ;   in Loop: Header=BB3_141 Depth=1
	global_load_dwordx2 v[20:21], v3, s[4:5]
.LBB3_190:                              ;   in Loop: Header=BB3_141 Depth=1
	v_readfirstlane_b32 s4, v37
	v_mov_b32_e32 v26, 0
	v_mov_b32_e32 v27, 0
	v_cmp_eq_u32_e64 s4, s4, v37
	s_and_saveexec_b32 s5, s4
	s_cbranch_execz .LBB3_196
; %bb.191:                              ;   in Loop: Header=BB3_141 Depth=1
	global_load_dwordx2 v[24:25], v3, s[26:27] offset:24 glc dlc
	s_waitcnt vmcnt(0)
	buffer_gl1_inv
	buffer_gl0_inv
	s_clause 0x1
	global_load_dwordx2 v[22:23], v3, s[26:27] offset:40
	global_load_dwordx2 v[26:27], v3, s[26:27]
	s_mov_b32 s18, exec_lo
	s_waitcnt vmcnt(1)
	v_and_b32_e32 v2, v23, v25
	v_and_b32_e32 v22, v22, v24
	v_mul_lo_u32 v2, v2, 24
	v_mul_hi_u32 v23, v22, 24
	v_mul_lo_u32 v22, v22, 24
	v_add_nc_u32_e32 v2, v23, v2
	s_waitcnt vmcnt(0)
	v_add_co_u32 v22, vcc_lo, v26, v22
	v_add_co_ci_u32_e32 v23, vcc_lo, v27, v2, vcc_lo
	global_load_dwordx2 v[22:23], v[22:23], off glc dlc
	s_waitcnt vmcnt(0)
	global_atomic_cmpswap_x2 v[26:27], v3, v[22:25], s[26:27] offset:24 glc
	s_waitcnt vmcnt(0)
	buffer_gl1_inv
	buffer_gl0_inv
	v_cmpx_ne_u64_e64 v[26:27], v[24:25]
	s_cbranch_execz .LBB3_195
; %bb.192:                              ;   in Loop: Header=BB3_141 Depth=1
	s_mov_b32 s19, 0
	.p2align	6
.LBB3_193:                              ;   Parent Loop BB3_141 Depth=1
                                        ; =>  This Inner Loop Header: Depth=2
	s_sleep 1
	s_clause 0x1
	global_load_dwordx2 v[22:23], v3, s[26:27] offset:40
	global_load_dwordx2 v[28:29], v3, s[26:27]
	v_mov_b32_e32 v24, v26
	v_mov_b32_e32 v25, v27
	s_waitcnt vmcnt(1)
	v_and_b32_e32 v2, v22, v24
	v_and_b32_e32 v22, v23, v25
	s_waitcnt vmcnt(0)
	v_mad_u64_u32 v[26:27], null, v2, 24, v[28:29]
	v_mov_b32_e32 v2, v27
	v_mad_u64_u32 v[22:23], null, v22, 24, v[2:3]
	v_mov_b32_e32 v27, v22
	global_load_dwordx2 v[22:23], v[26:27], off glc dlc
	s_waitcnt vmcnt(0)
	global_atomic_cmpswap_x2 v[26:27], v3, v[22:25], s[26:27] offset:24 glc
	s_waitcnt vmcnt(0)
	buffer_gl1_inv
	buffer_gl0_inv
	v_cmp_eq_u64_e32 vcc_lo, v[26:27], v[24:25]
	s_or_b32 s19, vcc_lo, s19
	s_andn2_b32 exec_lo, exec_lo, s19
	s_cbranch_execnz .LBB3_193
; %bb.194:                              ;   in Loop: Header=BB3_141 Depth=1
	s_or_b32 exec_lo, exec_lo, s19
.LBB3_195:                              ;   in Loop: Header=BB3_141 Depth=1
	s_or_b32 exec_lo, exec_lo, s18
.LBB3_196:                              ;   in Loop: Header=BB3_141 Depth=1
	s_or_b32 exec_lo, exec_lo, s5
	s_clause 0x1
	global_load_dwordx2 v[28:29], v3, s[26:27] offset:40
	global_load_dwordx4 v[22:25], v3, s[26:27]
	v_readfirstlane_b32 s18, v26
	v_readfirstlane_b32 s19, v27
	s_mov_b32 s5, exec_lo
	s_waitcnt vmcnt(1)
	v_readfirstlane_b32 s20, v28
	v_readfirstlane_b32 s21, v29
	s_and_b64 s[20:21], s[18:19], s[20:21]
	s_mul_i32 s23, s21, 24
	s_mul_hi_u32 s24, s20, 24
	s_mul_i32 s25, s20, 24
	s_add_i32 s24, s24, s23
	s_waitcnt vmcnt(0)
	v_add_co_u32 v26, vcc_lo, v22, s25
	v_add_co_ci_u32_e32 v27, vcc_lo, s24, v23, vcc_lo
	s_and_saveexec_b32 s23, s4
	s_cbranch_execz .LBB3_198
; %bb.197:                              ;   in Loop: Header=BB3_141 Depth=1
	v_mov_b32_e32 v2, s5
	global_store_dwordx4 v[26:27], v[2:5], off offset:8
.LBB3_198:                              ;   in Loop: Header=BB3_141 Depth=1
	s_or_b32 exec_lo, exec_lo, s23
	s_lshl_b64 s[20:21], s[20:21], 12
	v_or_b32_e32 v2, 2, v6
	v_add_co_u32 v24, vcc_lo, v24, s20
	v_add_co_ci_u32_e32 v25, vcc_lo, s21, v25, vcc_lo
	v_cmp_gt_u64_e64 vcc_lo, s[14:15], 56
	s_lshl_b32 s5, s16, 2
	v_readfirstlane_b32 s20, v24
	s_add_i32 s5, s5, 28
	v_readfirstlane_b32 s21, v25
	s_and_b32 s5, s5, 0x1e0
	v_cndmask_b32_e32 v2, v2, v6, vcc_lo
	v_and_or_b32 v6, 0xffffff1f, v2, s5
	global_store_dwordx4 v36, v[10:13], s[20:21] offset:16
	global_store_dwordx4 v36, v[6:9], s[20:21]
	global_store_dwordx4 v36, v[14:17], s[20:21] offset:32
	global_store_dwordx4 v36, v[18:21], s[20:21] offset:48
	s_and_saveexec_b32 s5, s4
	s_cbranch_execz .LBB3_206
; %bb.199:                              ;   in Loop: Header=BB3_141 Depth=1
	s_clause 0x1
	global_load_dwordx2 v[14:15], v3, s[26:27] offset:32 glc dlc
	global_load_dwordx2 v[6:7], v3, s[26:27] offset:40
	v_mov_b32_e32 v12, s18
	v_mov_b32_e32 v13, s19
	s_waitcnt vmcnt(0)
	v_readfirstlane_b32 s20, v6
	v_readfirstlane_b32 s21, v7
	s_and_b64 s[20:21], s[20:21], s[18:19]
	s_mul_i32 s21, s21, 24
	s_mul_hi_u32 s23, s20, 24
	s_mul_i32 s20, s20, 24
	s_add_i32 s23, s23, s21
	v_add_co_u32 v10, vcc_lo, v22, s20
	v_add_co_ci_u32_e32 v11, vcc_lo, s23, v23, vcc_lo
	s_mov_b32 s20, exec_lo
	global_store_dwordx2 v[10:11], v[14:15], off
	s_waitcnt_vscnt null, 0x0
	global_atomic_cmpswap_x2 v[8:9], v3, v[12:15], s[26:27] offset:32 glc
	s_waitcnt vmcnt(0)
	v_cmpx_ne_u64_e64 v[8:9], v[14:15]
	s_cbranch_execz .LBB3_202
; %bb.200:                              ;   in Loop: Header=BB3_141 Depth=1
	s_mov_b32 s21, 0
.LBB3_201:                              ;   Parent Loop BB3_141 Depth=1
                                        ; =>  This Inner Loop Header: Depth=2
	v_mov_b32_e32 v6, s18
	v_mov_b32_e32 v7, s19
	s_sleep 1
	global_store_dwordx2 v[10:11], v[8:9], off
	s_waitcnt_vscnt null, 0x0
	global_atomic_cmpswap_x2 v[6:7], v3, v[6:9], s[26:27] offset:32 glc
	s_waitcnt vmcnt(0)
	v_cmp_eq_u64_e32 vcc_lo, v[6:7], v[8:9]
	v_mov_b32_e32 v9, v7
	v_mov_b32_e32 v8, v6
	s_or_b32 s21, vcc_lo, s21
	s_andn2_b32 exec_lo, exec_lo, s21
	s_cbranch_execnz .LBB3_201
.LBB3_202:                              ;   in Loop: Header=BB3_141 Depth=1
	s_or_b32 exec_lo, exec_lo, s20
	global_load_dwordx2 v[6:7], v3, s[26:27] offset:16
	s_mov_b32 s21, exec_lo
	s_mov_b32 s20, exec_lo
	v_mbcnt_lo_u32_b32 v2, s21, 0
	v_cmpx_eq_u32_e32 0, v2
	s_cbranch_execz .LBB3_204
; %bb.203:                              ;   in Loop: Header=BB3_141 Depth=1
	s_bcnt1_i32_b32 s21, s21
	v_mov_b32_e32 v2, s21
	s_waitcnt vmcnt(0)
	global_atomic_add_x2 v[6:7], v[2:3], off offset:8
.LBB3_204:                              ;   in Loop: Header=BB3_141 Depth=1
	s_or_b32 exec_lo, exec_lo, s20
	s_waitcnt vmcnt(0)
	global_load_dwordx2 v[8:9], v[6:7], off offset:16
	s_waitcnt vmcnt(0)
	v_cmp_eq_u64_e32 vcc_lo, 0, v[8:9]
	s_cbranch_vccnz .LBB3_206
; %bb.205:                              ;   in Loop: Header=BB3_141 Depth=1
	global_load_dword v2, v[6:7], off offset:24
	s_waitcnt vmcnt(0)
	v_and_b32_e32 v6, 0x7fffff, v2
	s_waitcnt_vscnt null, 0x0
	global_store_dwordx2 v[8:9], v[2:3], off
	v_readfirstlane_b32 m0, v6
	s_sendmsg sendmsg(MSG_INTERRUPT)
.LBB3_206:                              ;   in Loop: Header=BB3_141 Depth=1
	s_or_b32 exec_lo, exec_lo, s5
	v_add_co_u32 v6, vcc_lo, v24, v36
	v_add_co_ci_u32_e32 v7, vcc_lo, 0, v25, vcc_lo
	s_branch .LBB3_210
	.p2align	6
.LBB3_207:                              ;   in Loop: Header=BB3_210 Depth=2
	s_or_b32 exec_lo, exec_lo, s5
	v_readfirstlane_b32 s5, v2
	s_cmp_eq_u32 s5, 0
	s_cbranch_scc1 .LBB3_209
; %bb.208:                              ;   in Loop: Header=BB3_210 Depth=2
	s_sleep 1
	s_cbranch_execnz .LBB3_210
	s_branch .LBB3_212
	.p2align	6
.LBB3_209:                              ;   in Loop: Header=BB3_141 Depth=1
	s_branch .LBB3_212
.LBB3_210:                              ;   Parent Loop BB3_141 Depth=1
                                        ; =>  This Inner Loop Header: Depth=2
	v_mov_b32_e32 v2, 1
	s_and_saveexec_b32 s5, s4
	s_cbranch_execz .LBB3_207
; %bb.211:                              ;   in Loop: Header=BB3_210 Depth=2
	global_load_dword v2, v[26:27], off offset:20 glc dlc
	s_waitcnt vmcnt(0)
	buffer_gl1_inv
	buffer_gl0_inv
	v_and_b32_e32 v2, 1, v2
	s_branch .LBB3_207
.LBB3_212:                              ;   in Loop: Header=BB3_141 Depth=1
	global_load_dwordx4 v[6:9], v[6:7], off
	s_and_saveexec_b32 s5, s4
	s_cbranch_execz .LBB3_140
; %bb.213:                              ;   in Loop: Header=BB3_141 Depth=1
	s_clause 0x2
	global_load_dwordx2 v[10:11], v3, s[26:27] offset:40
	global_load_dwordx2 v[14:15], v3, s[26:27] offset:24 glc dlc
	global_load_dwordx2 v[12:13], v3, s[26:27]
	s_waitcnt vmcnt(2)
	v_add_co_u32 v2, vcc_lo, v10, 1
	v_add_co_ci_u32_e32 v16, vcc_lo, 0, v11, vcc_lo
	v_add_co_u32 v8, vcc_lo, v2, s18
	v_add_co_ci_u32_e32 v9, vcc_lo, s19, v16, vcc_lo
	v_cmp_eq_u64_e32 vcc_lo, 0, v[8:9]
	v_cndmask_b32_e32 v9, v9, v16, vcc_lo
	v_cndmask_b32_e32 v8, v8, v2, vcc_lo
	v_and_b32_e32 v2, v9, v11
	v_and_b32_e32 v10, v8, v10
	v_mul_lo_u32 v2, v2, 24
	v_mul_hi_u32 v11, v10, 24
	v_mul_lo_u32 v10, v10, 24
	v_add_nc_u32_e32 v2, v11, v2
	s_waitcnt vmcnt(0)
	v_add_co_u32 v12, vcc_lo, v12, v10
	v_mov_b32_e32 v10, v14
	v_mov_b32_e32 v11, v15
	v_add_co_ci_u32_e32 v13, vcc_lo, v13, v2, vcc_lo
	global_store_dwordx2 v[12:13], v[14:15], off
	s_waitcnt_vscnt null, 0x0
	global_atomic_cmpswap_x2 v[10:11], v3, v[8:11], s[26:27] offset:24 glc
	s_waitcnt vmcnt(0)
	v_cmp_ne_u64_e32 vcc_lo, v[10:11], v[14:15]
	s_and_b32 exec_lo, exec_lo, vcc_lo
	s_cbranch_execz .LBB3_140
; %bb.214:                              ;   in Loop: Header=BB3_141 Depth=1
	s_mov_b32 s4, 0
.LBB3_215:                              ;   Parent Loop BB3_141 Depth=1
                                        ; =>  This Inner Loop Header: Depth=2
	s_sleep 1
	global_store_dwordx2 v[12:13], v[10:11], off
	s_waitcnt_vscnt null, 0x0
	global_atomic_cmpswap_x2 v[14:15], v3, v[8:11], s[26:27] offset:24 glc
	s_waitcnt vmcnt(0)
	v_cmp_eq_u64_e32 vcc_lo, v[14:15], v[10:11]
	v_mov_b32_e32 v10, v14
	v_mov_b32_e32 v11, v15
	s_or_b32 s4, vcc_lo, s4
	s_andn2_b32 exec_lo, exec_lo, s4
	s_cbranch_execnz .LBB3_215
	s_branch .LBB3_140
.LBB3_216:
	s_branch .LBB3_245
.LBB3_217:
	s_cbranch_execz .LBB3_245
; %bb.218:
	v_readfirstlane_b32 s4, v37
	s_waitcnt vmcnt(0)
	v_mov_b32_e32 v8, 0
	v_mov_b32_e32 v9, 0
	v_cmp_eq_u32_e64 s4, s4, v37
	s_and_saveexec_b32 s5, s4
	s_cbranch_execz .LBB3_224
; %bb.219:
	v_mov_b32_e32 v2, 0
	s_mov_b32 s8, exec_lo
	global_load_dwordx2 v[5:6], v2, s[26:27] offset:24 glc dlc
	s_waitcnt vmcnt(0)
	buffer_gl1_inv
	buffer_gl0_inv
	s_clause 0x1
	global_load_dwordx2 v[3:4], v2, s[26:27] offset:40
	global_load_dwordx2 v[7:8], v2, s[26:27]
	s_waitcnt vmcnt(1)
	v_and_b32_e32 v4, v4, v6
	v_and_b32_e32 v3, v3, v5
	v_mul_lo_u32 v4, v4, 24
	v_mul_hi_u32 v9, v3, 24
	v_mul_lo_u32 v3, v3, 24
	v_add_nc_u32_e32 v4, v9, v4
	s_waitcnt vmcnt(0)
	v_add_co_u32 v3, vcc_lo, v7, v3
	v_add_co_ci_u32_e32 v4, vcc_lo, v8, v4, vcc_lo
	global_load_dwordx2 v[3:4], v[3:4], off glc dlc
	s_waitcnt vmcnt(0)
	global_atomic_cmpswap_x2 v[8:9], v2, v[3:6], s[26:27] offset:24 glc
	s_waitcnt vmcnt(0)
	buffer_gl1_inv
	buffer_gl0_inv
	v_cmpx_ne_u64_e64 v[8:9], v[5:6]
	s_cbranch_execz .LBB3_223
; %bb.220:
	s_mov_b32 s9, 0
	.p2align	6
.LBB3_221:                              ; =>This Inner Loop Header: Depth=1
	s_sleep 1
	s_clause 0x1
	global_load_dwordx2 v[3:4], v2, s[26:27] offset:40
	global_load_dwordx2 v[10:11], v2, s[26:27]
	v_mov_b32_e32 v5, v8
	v_mov_b32_e32 v6, v9
	s_waitcnt vmcnt(1)
	v_and_b32_e32 v3, v3, v5
	v_and_b32_e32 v4, v4, v6
	s_waitcnt vmcnt(0)
	v_mad_u64_u32 v[7:8], null, v3, 24, v[10:11]
	v_mov_b32_e32 v3, v8
	v_mad_u64_u32 v[3:4], null, v4, 24, v[3:4]
	v_mov_b32_e32 v8, v3
	global_load_dwordx2 v[3:4], v[7:8], off glc dlc
	s_waitcnt vmcnt(0)
	global_atomic_cmpswap_x2 v[8:9], v2, v[3:6], s[26:27] offset:24 glc
	s_waitcnt vmcnt(0)
	buffer_gl1_inv
	buffer_gl0_inv
	v_cmp_eq_u64_e32 vcc_lo, v[8:9], v[5:6]
	s_or_b32 s9, vcc_lo, s9
	s_andn2_b32 exec_lo, exec_lo, s9
	s_cbranch_execnz .LBB3_221
; %bb.222:
	s_or_b32 exec_lo, exec_lo, s9
.LBB3_223:
	s_or_b32 exec_lo, exec_lo, s8
.LBB3_224:
	s_or_b32 exec_lo, exec_lo, s5
	v_mov_b32_e32 v2, 0
	v_readfirstlane_b32 s8, v8
	v_readfirstlane_b32 s9, v9
	s_mov_b32 s5, exec_lo
	s_clause 0x1
	global_load_dwordx2 v[10:11], v2, s[26:27] offset:40
	global_load_dwordx4 v[4:7], v2, s[26:27]
	s_waitcnt vmcnt(1)
	v_readfirstlane_b32 s14, v10
	v_readfirstlane_b32 s15, v11
	s_and_b64 s[14:15], s[8:9], s[14:15]
	s_mul_i32 s16, s15, 24
	s_mul_hi_u32 s17, s14, 24
	s_mul_i32 s18, s14, 24
	s_add_i32 s17, s17, s16
	s_waitcnt vmcnt(0)
	v_add_co_u32 v8, vcc_lo, v4, s18
	v_add_co_ci_u32_e32 v9, vcc_lo, s17, v5, vcc_lo
	s_and_saveexec_b32 s16, s4
	s_cbranch_execz .LBB3_226
; %bb.225:
	v_mov_b32_e32 v10, s5
	v_mov_b32_e32 v11, v2
	v_mov_b32_e32 v12, 2
	v_mov_b32_e32 v13, 1
	global_store_dwordx4 v[8:9], v[10:13], off offset:8
.LBB3_226:
	s_or_b32 exec_lo, exec_lo, s16
	s_lshl_b64 s[14:15], s[14:15], 12
	s_mov_b32 s16, 0
	v_add_co_u32 v6, vcc_lo, v6, s14
	v_add_co_ci_u32_e32 v7, vcc_lo, s15, v7, vcc_lo
	s_mov_b32 s17, s16
	s_mov_b32 s18, s16
	;; [unrolled: 1-line block ×3, first 2 shown]
	v_and_or_b32 v0, 0xffffff1d, v0, 34
	v_mov_b32_e32 v3, v2
	v_readfirstlane_b32 s14, v6
	v_readfirstlane_b32 s15, v7
	v_mov_b32_e32 v10, s16
	v_mov_b32_e32 v11, s17
	;; [unrolled: 1-line block ×4, first 2 shown]
	global_store_dwordx4 v36, v[0:3], s[14:15]
	global_store_dwordx4 v36, v[10:13], s[14:15] offset:16
	global_store_dwordx4 v36, v[10:13], s[14:15] offset:32
	;; [unrolled: 1-line block ×3, first 2 shown]
	s_and_saveexec_b32 s5, s4
	s_cbranch_execz .LBB3_234
; %bb.227:
	v_mov_b32_e32 v6, 0
	v_mov_b32_e32 v10, s8
	;; [unrolled: 1-line block ×3, first 2 shown]
	s_clause 0x1
	global_load_dwordx2 v[12:13], v6, s[26:27] offset:32 glc dlc
	global_load_dwordx2 v[0:1], v6, s[26:27] offset:40
	s_waitcnt vmcnt(0)
	v_readfirstlane_b32 s14, v0
	v_readfirstlane_b32 s15, v1
	s_and_b64 s[14:15], s[14:15], s[8:9]
	s_mul_i32 s15, s15, 24
	s_mul_hi_u32 s16, s14, 24
	s_mul_i32 s14, s14, 24
	s_add_i32 s16, s16, s15
	v_add_co_u32 v4, vcc_lo, v4, s14
	v_add_co_ci_u32_e32 v5, vcc_lo, s16, v5, vcc_lo
	s_mov_b32 s14, exec_lo
	global_store_dwordx2 v[4:5], v[12:13], off
	s_waitcnt_vscnt null, 0x0
	global_atomic_cmpswap_x2 v[2:3], v6, v[10:13], s[26:27] offset:32 glc
	s_waitcnt vmcnt(0)
	v_cmpx_ne_u64_e64 v[2:3], v[12:13]
	s_cbranch_execz .LBB3_230
; %bb.228:
	s_mov_b32 s15, 0
.LBB3_229:                              ; =>This Inner Loop Header: Depth=1
	v_mov_b32_e32 v0, s8
	v_mov_b32_e32 v1, s9
	s_sleep 1
	global_store_dwordx2 v[4:5], v[2:3], off
	s_waitcnt_vscnt null, 0x0
	global_atomic_cmpswap_x2 v[0:1], v6, v[0:3], s[26:27] offset:32 glc
	s_waitcnt vmcnt(0)
	v_cmp_eq_u64_e32 vcc_lo, v[0:1], v[2:3]
	v_mov_b32_e32 v3, v1
	v_mov_b32_e32 v2, v0
	s_or_b32 s15, vcc_lo, s15
	s_andn2_b32 exec_lo, exec_lo, s15
	s_cbranch_execnz .LBB3_229
.LBB3_230:
	s_or_b32 exec_lo, exec_lo, s14
	v_mov_b32_e32 v3, 0
	s_mov_b32 s15, exec_lo
	s_mov_b32 s14, exec_lo
	v_mbcnt_lo_u32_b32 v2, s15, 0
	global_load_dwordx2 v[0:1], v3, s[26:27] offset:16
	v_cmpx_eq_u32_e32 0, v2
	s_cbranch_execz .LBB3_232
; %bb.231:
	s_bcnt1_i32_b32 s15, s15
	v_mov_b32_e32 v2, s15
	s_waitcnt vmcnt(0)
	global_atomic_add_x2 v[0:1], v[2:3], off offset:8
.LBB3_232:
	s_or_b32 exec_lo, exec_lo, s14
	s_waitcnt vmcnt(0)
	global_load_dwordx2 v[2:3], v[0:1], off offset:16
	s_waitcnt vmcnt(0)
	v_cmp_eq_u64_e32 vcc_lo, 0, v[2:3]
	s_cbranch_vccnz .LBB3_234
; %bb.233:
	global_load_dword v0, v[0:1], off offset:24
	v_mov_b32_e32 v1, 0
	s_waitcnt vmcnt(0)
	v_and_b32_e32 v4, 0x7fffff, v0
	s_waitcnt_vscnt null, 0x0
	global_store_dwordx2 v[2:3], v[0:1], off
	v_readfirstlane_b32 m0, v4
	s_sendmsg sendmsg(MSG_INTERRUPT)
.LBB3_234:
	s_or_b32 exec_lo, exec_lo, s5
	s_branch .LBB3_238
	.p2align	6
.LBB3_235:                              ;   in Loop: Header=BB3_238 Depth=1
	s_or_b32 exec_lo, exec_lo, s5
	v_readfirstlane_b32 s5, v0
	s_cmp_eq_u32 s5, 0
	s_cbranch_scc1 .LBB3_237
; %bb.236:                              ;   in Loop: Header=BB3_238 Depth=1
	s_sleep 1
	s_cbranch_execnz .LBB3_238
	s_branch .LBB3_240
	.p2align	6
.LBB3_237:
	s_branch .LBB3_240
.LBB3_238:                              ; =>This Inner Loop Header: Depth=1
	v_mov_b32_e32 v0, 1
	s_and_saveexec_b32 s5, s4
	s_cbranch_execz .LBB3_235
; %bb.239:                              ;   in Loop: Header=BB3_238 Depth=1
	global_load_dword v0, v[8:9], off offset:20 glc dlc
	s_waitcnt vmcnt(0)
	buffer_gl1_inv
	buffer_gl0_inv
	v_and_b32_e32 v0, 1, v0
	s_branch .LBB3_235
.LBB3_240:
	s_and_saveexec_b32 s5, s4
	s_cbranch_execz .LBB3_244
; %bb.241:
	v_mov_b32_e32 v6, 0
	s_clause 0x2
	global_load_dwordx2 v[2:3], v6, s[26:27] offset:40
	global_load_dwordx2 v[7:8], v6, s[26:27] offset:24 glc dlc
	global_load_dwordx2 v[4:5], v6, s[26:27]
	s_waitcnt vmcnt(2)
	v_add_co_u32 v9, vcc_lo, v2, 1
	v_add_co_ci_u32_e32 v10, vcc_lo, 0, v3, vcc_lo
	v_add_co_u32 v0, vcc_lo, v9, s8
	v_add_co_ci_u32_e32 v1, vcc_lo, s9, v10, vcc_lo
	v_cmp_eq_u64_e32 vcc_lo, 0, v[0:1]
	v_cndmask_b32_e32 v1, v1, v10, vcc_lo
	v_cndmask_b32_e32 v0, v0, v9, vcc_lo
	v_and_b32_e32 v3, v1, v3
	v_and_b32_e32 v2, v0, v2
	v_mul_lo_u32 v3, v3, 24
	v_mul_hi_u32 v9, v2, 24
	v_mul_lo_u32 v2, v2, 24
	v_add_nc_u32_e32 v3, v9, v3
	s_waitcnt vmcnt(0)
	v_add_co_u32 v4, vcc_lo, v4, v2
	v_mov_b32_e32 v2, v7
	v_add_co_ci_u32_e32 v5, vcc_lo, v5, v3, vcc_lo
	v_mov_b32_e32 v3, v8
	global_store_dwordx2 v[4:5], v[7:8], off
	s_waitcnt_vscnt null, 0x0
	global_atomic_cmpswap_x2 v[2:3], v6, v[0:3], s[26:27] offset:24 glc
	s_waitcnt vmcnt(0)
	v_cmp_ne_u64_e32 vcc_lo, v[2:3], v[7:8]
	s_and_b32 exec_lo, exec_lo, vcc_lo
	s_cbranch_execz .LBB3_244
; %bb.242:
	s_mov_b32 s4, 0
.LBB3_243:                              ; =>This Inner Loop Header: Depth=1
	s_sleep 1
	global_store_dwordx2 v[4:5], v[2:3], off
	s_waitcnt_vscnt null, 0x0
	global_atomic_cmpswap_x2 v[7:8], v6, v[0:3], s[26:27] offset:24 glc
	s_waitcnt vmcnt(0)
	v_cmp_eq_u64_e32 vcc_lo, v[7:8], v[2:3]
	v_mov_b32_e32 v2, v7
	v_mov_b32_e32 v3, v8
	s_or_b32 s4, vcc_lo, s4
	s_andn2_b32 exec_lo, exec_lo, s4
	s_cbranch_execnz .LBB3_243
.LBB3_244:
	s_or_b32 exec_lo, exec_lo, s5
.LBB3_245:
	v_readfirstlane_b32 s4, v37
	s_waitcnt vmcnt(0)
	v_mov_b32_e32 v6, 0
	v_mov_b32_e32 v7, 0
	v_cmp_eq_u32_e64 s4, s4, v37
	s_and_saveexec_b32 s5, s4
	s_cbranch_execz .LBB3_251
; %bb.246:
	v_mov_b32_e32 v0, 0
	s_mov_b32 s8, exec_lo
	global_load_dwordx2 v[3:4], v0, s[26:27] offset:24 glc dlc
	s_waitcnt vmcnt(0)
	buffer_gl1_inv
	buffer_gl0_inv
	s_clause 0x1
	global_load_dwordx2 v[1:2], v0, s[26:27] offset:40
	global_load_dwordx2 v[5:6], v0, s[26:27]
	s_waitcnt vmcnt(1)
	v_and_b32_e32 v2, v2, v4
	v_and_b32_e32 v1, v1, v3
	v_mul_lo_u32 v2, v2, 24
	v_mul_hi_u32 v7, v1, 24
	v_mul_lo_u32 v1, v1, 24
	v_add_nc_u32_e32 v2, v7, v2
	s_waitcnt vmcnt(0)
	v_add_co_u32 v1, vcc_lo, v5, v1
	v_add_co_ci_u32_e32 v2, vcc_lo, v6, v2, vcc_lo
	global_load_dwordx2 v[1:2], v[1:2], off glc dlc
	s_waitcnt vmcnt(0)
	global_atomic_cmpswap_x2 v[6:7], v0, v[1:4], s[26:27] offset:24 glc
	s_waitcnt vmcnt(0)
	buffer_gl1_inv
	buffer_gl0_inv
	v_cmpx_ne_u64_e64 v[6:7], v[3:4]
	s_cbranch_execz .LBB3_250
; %bb.247:
	s_mov_b32 s9, 0
	.p2align	6
.LBB3_248:                              ; =>This Inner Loop Header: Depth=1
	s_sleep 1
	s_clause 0x1
	global_load_dwordx2 v[1:2], v0, s[26:27] offset:40
	global_load_dwordx2 v[8:9], v0, s[26:27]
	v_mov_b32_e32 v3, v6
	v_mov_b32_e32 v4, v7
	s_waitcnt vmcnt(1)
	v_and_b32_e32 v1, v1, v3
	v_and_b32_e32 v2, v2, v4
	s_waitcnt vmcnt(0)
	v_mad_u64_u32 v[5:6], null, v1, 24, v[8:9]
	v_mov_b32_e32 v1, v6
	v_mad_u64_u32 v[1:2], null, v2, 24, v[1:2]
	v_mov_b32_e32 v6, v1
	global_load_dwordx2 v[1:2], v[5:6], off glc dlc
	s_waitcnt vmcnt(0)
	global_atomic_cmpswap_x2 v[6:7], v0, v[1:4], s[26:27] offset:24 glc
	s_waitcnt vmcnt(0)
	buffer_gl1_inv
	buffer_gl0_inv
	v_cmp_eq_u64_e32 vcc_lo, v[6:7], v[3:4]
	s_or_b32 s9, vcc_lo, s9
	s_andn2_b32 exec_lo, exec_lo, s9
	s_cbranch_execnz .LBB3_248
; %bb.249:
	s_or_b32 exec_lo, exec_lo, s9
.LBB3_250:
	s_or_b32 exec_lo, exec_lo, s8
.LBB3_251:
	s_or_b32 exec_lo, exec_lo, s5
	v_mov_b32_e32 v5, 0
	v_readfirstlane_b32 s8, v6
	v_readfirstlane_b32 s9, v7
	s_mov_b32 s5, exec_lo
	s_clause 0x1
	global_load_dwordx2 v[8:9], v5, s[26:27] offset:40
	global_load_dwordx4 v[0:3], v5, s[26:27]
	s_waitcnt vmcnt(1)
	v_readfirstlane_b32 s14, v8
	v_readfirstlane_b32 s15, v9
	s_and_b64 s[14:15], s[8:9], s[14:15]
	s_mul_i32 s16, s15, 24
	s_mul_hi_u32 s17, s14, 24
	s_mul_i32 s18, s14, 24
	s_add_i32 s17, s17, s16
	s_waitcnt vmcnt(0)
	v_add_co_u32 v8, vcc_lo, v0, s18
	v_add_co_ci_u32_e32 v9, vcc_lo, s17, v1, vcc_lo
	s_and_saveexec_b32 s16, s4
	s_cbranch_execz .LBB3_253
; %bb.252:
	v_mov_b32_e32 v4, s5
	v_mov_b32_e32 v6, 2
	;; [unrolled: 1-line block ×3, first 2 shown]
	global_store_dwordx4 v[8:9], v[4:7], off offset:8
.LBB3_253:
	s_or_b32 exec_lo, exec_lo, s16
	s_lshl_b64 s[14:15], s[14:15], 12
	s_mov_b32 s16, 0
	v_add_co_u32 v2, vcc_lo, v2, s14
	v_add_co_ci_u32_e32 v3, vcc_lo, s15, v3, vcc_lo
	s_mov_b32 s17, s16
	v_add_co_u32 v10, vcc_lo, v2, v36
	s_mov_b32 s18, s16
	s_mov_b32 s19, s16
	v_mov_b32_e32 v4, 33
	v_mov_b32_e32 v6, v5
	;; [unrolled: 1-line block ×3, first 2 shown]
	v_readfirstlane_b32 s14, v2
	v_readfirstlane_b32 s15, v3
	v_mov_b32_e32 v12, s16
	v_add_co_ci_u32_e32 v11, vcc_lo, 0, v3, vcc_lo
	v_mov_b32_e32 v13, s17
	v_mov_b32_e32 v14, s18
	;; [unrolled: 1-line block ×3, first 2 shown]
	global_store_dwordx4 v36, v[4:7], s[14:15]
	global_store_dwordx4 v36, v[12:15], s[14:15] offset:16
	global_store_dwordx4 v36, v[12:15], s[14:15] offset:32
	;; [unrolled: 1-line block ×3, first 2 shown]
	s_and_saveexec_b32 s5, s4
	s_cbranch_execz .LBB3_261
; %bb.254:
	v_mov_b32_e32 v6, 0
	v_mov_b32_e32 v12, s8
	v_mov_b32_e32 v13, s9
	s_clause 0x1
	global_load_dwordx2 v[14:15], v6, s[26:27] offset:32 glc dlc
	global_load_dwordx2 v[2:3], v6, s[26:27] offset:40
	s_waitcnt vmcnt(0)
	v_readfirstlane_b32 s14, v2
	v_readfirstlane_b32 s15, v3
	s_and_b64 s[14:15], s[14:15], s[8:9]
	s_mul_i32 s15, s15, 24
	s_mul_hi_u32 s16, s14, 24
	s_mul_i32 s14, s14, 24
	s_add_i32 s16, s16, s15
	v_add_co_u32 v4, vcc_lo, v0, s14
	v_add_co_ci_u32_e32 v5, vcc_lo, s16, v1, vcc_lo
	s_mov_b32 s14, exec_lo
	global_store_dwordx2 v[4:5], v[14:15], off
	s_waitcnt_vscnt null, 0x0
	global_atomic_cmpswap_x2 v[2:3], v6, v[12:15], s[26:27] offset:32 glc
	s_waitcnt vmcnt(0)
	v_cmpx_ne_u64_e64 v[2:3], v[14:15]
	s_cbranch_execz .LBB3_257
; %bb.255:
	s_mov_b32 s15, 0
.LBB3_256:                              ; =>This Inner Loop Header: Depth=1
	v_mov_b32_e32 v0, s8
	v_mov_b32_e32 v1, s9
	s_sleep 1
	global_store_dwordx2 v[4:5], v[2:3], off
	s_waitcnt_vscnt null, 0x0
	global_atomic_cmpswap_x2 v[0:1], v6, v[0:3], s[26:27] offset:32 glc
	s_waitcnt vmcnt(0)
	v_cmp_eq_u64_e32 vcc_lo, v[0:1], v[2:3]
	v_mov_b32_e32 v3, v1
	v_mov_b32_e32 v2, v0
	s_or_b32 s15, vcc_lo, s15
	s_andn2_b32 exec_lo, exec_lo, s15
	s_cbranch_execnz .LBB3_256
.LBB3_257:
	s_or_b32 exec_lo, exec_lo, s14
	v_mov_b32_e32 v3, 0
	s_mov_b32 s15, exec_lo
	s_mov_b32 s14, exec_lo
	v_mbcnt_lo_u32_b32 v2, s15, 0
	global_load_dwordx2 v[0:1], v3, s[26:27] offset:16
	v_cmpx_eq_u32_e32 0, v2
	s_cbranch_execz .LBB3_259
; %bb.258:
	s_bcnt1_i32_b32 s15, s15
	v_mov_b32_e32 v2, s15
	s_waitcnt vmcnt(0)
	global_atomic_add_x2 v[0:1], v[2:3], off offset:8
.LBB3_259:
	s_or_b32 exec_lo, exec_lo, s14
	s_waitcnt vmcnt(0)
	global_load_dwordx2 v[2:3], v[0:1], off offset:16
	s_waitcnt vmcnt(0)
	v_cmp_eq_u64_e32 vcc_lo, 0, v[2:3]
	s_cbranch_vccnz .LBB3_261
; %bb.260:
	global_load_dword v0, v[0:1], off offset:24
	v_mov_b32_e32 v1, 0
	s_waitcnt vmcnt(0)
	v_and_b32_e32 v4, 0x7fffff, v0
	s_waitcnt_vscnt null, 0x0
	global_store_dwordx2 v[2:3], v[0:1], off
	v_readfirstlane_b32 m0, v4
	s_sendmsg sendmsg(MSG_INTERRUPT)
.LBB3_261:
	s_or_b32 exec_lo, exec_lo, s5
	s_branch .LBB3_265
	.p2align	6
.LBB3_262:                              ;   in Loop: Header=BB3_265 Depth=1
	s_or_b32 exec_lo, exec_lo, s5
	v_readfirstlane_b32 s5, v0
	s_cmp_eq_u32 s5, 0
	s_cbranch_scc1 .LBB3_264
; %bb.263:                              ;   in Loop: Header=BB3_265 Depth=1
	s_sleep 1
	s_cbranch_execnz .LBB3_265
	s_branch .LBB3_267
	.p2align	6
.LBB3_264:
	s_branch .LBB3_267
.LBB3_265:                              ; =>This Inner Loop Header: Depth=1
	v_mov_b32_e32 v0, 1
	s_and_saveexec_b32 s5, s4
	s_cbranch_execz .LBB3_262
; %bb.266:                              ;   in Loop: Header=BB3_265 Depth=1
	global_load_dword v0, v[8:9], off offset:20 glc dlc
	s_waitcnt vmcnt(0)
	buffer_gl1_inv
	buffer_gl0_inv
	v_and_b32_e32 v0, 1, v0
	s_branch .LBB3_262
.LBB3_267:
	global_load_dwordx2 v[0:1], v[10:11], off
	s_and_saveexec_b32 s5, s4
	s_cbranch_execz .LBB3_271
; %bb.268:
	v_mov_b32_e32 v8, 0
	s_clause 0x2
	global_load_dwordx2 v[4:5], v8, s[26:27] offset:40
	global_load_dwordx2 v[9:10], v8, s[26:27] offset:24 glc dlc
	global_load_dwordx2 v[6:7], v8, s[26:27]
	s_waitcnt vmcnt(2)
	v_add_co_u32 v11, vcc_lo, v4, 1
	v_add_co_ci_u32_e32 v12, vcc_lo, 0, v5, vcc_lo
	v_add_co_u32 v2, vcc_lo, v11, s8
	v_add_co_ci_u32_e32 v3, vcc_lo, s9, v12, vcc_lo
	v_cmp_eq_u64_e32 vcc_lo, 0, v[2:3]
	v_cndmask_b32_e32 v3, v3, v12, vcc_lo
	v_cndmask_b32_e32 v2, v2, v11, vcc_lo
	v_and_b32_e32 v5, v3, v5
	v_and_b32_e32 v4, v2, v4
	v_mul_lo_u32 v5, v5, 24
	v_mul_hi_u32 v11, v4, 24
	v_mul_lo_u32 v4, v4, 24
	v_add_nc_u32_e32 v5, v11, v5
	s_waitcnt vmcnt(0)
	v_add_co_u32 v6, vcc_lo, v6, v4
	v_mov_b32_e32 v4, v9
	v_add_co_ci_u32_e32 v7, vcc_lo, v7, v5, vcc_lo
	v_mov_b32_e32 v5, v10
	global_store_dwordx2 v[6:7], v[9:10], off
	s_waitcnt_vscnt null, 0x0
	global_atomic_cmpswap_x2 v[4:5], v8, v[2:5], s[26:27] offset:24 glc
	s_waitcnt vmcnt(0)
	v_cmp_ne_u64_e32 vcc_lo, v[4:5], v[9:10]
	s_and_b32 exec_lo, exec_lo, vcc_lo
	s_cbranch_execz .LBB3_271
; %bb.269:
	s_mov_b32 s4, 0
.LBB3_270:                              ; =>This Inner Loop Header: Depth=1
	s_sleep 1
	global_store_dwordx2 v[6:7], v[4:5], off
	s_waitcnt_vscnt null, 0x0
	global_atomic_cmpswap_x2 v[9:10], v8, v[2:5], s[26:27] offset:24 glc
	s_waitcnt vmcnt(0)
	v_cmp_eq_u64_e32 vcc_lo, v[9:10], v[4:5]
	v_mov_b32_e32 v4, v9
	v_mov_b32_e32 v5, v10
	s_or_b32 s4, vcc_lo, s4
	s_andn2_b32 exec_lo, exec_lo, s4
	s_cbranch_execnz .LBB3_270
.LBB3_271:
	s_or_b32 exec_lo, exec_lo, s5
	s_getpc_b64 s[8:9]
	s_add_u32 s8, s8, .str.6@rel32@lo+4
	s_addc_u32 s9, s9, .str.6@rel32@hi+12
	s_cmp_lg_u64 s[8:9], 0
	s_cselect_b32 s35, -1, 0
	s_and_b32 vcc_lo, exec_lo, s35
	s_cbranch_vccz .LBB3_350
; %bb.272:
	s_waitcnt vmcnt(0)
	v_and_b32_e32 v31, 2, v0
	v_mov_b32_e32 v6, 0
	v_and_b32_e32 v2, -3, v0
	v_mov_b32_e32 v3, v1
	v_mov_b32_e32 v7, 2
	;; [unrolled: 1-line block ×3, first 2 shown]
	s_mov_b64 s[14:15], 3
	s_branch .LBB3_274
.LBB3_273:                              ;   in Loop: Header=BB3_274 Depth=1
	s_or_b32 exec_lo, exec_lo, s5
	s_sub_u32 s14, s14, s16
	s_subb_u32 s15, s15, s17
	s_add_u32 s8, s8, s16
	s_addc_u32 s9, s9, s17
	s_cmp_lg_u64 s[14:15], 0
	s_cbranch_scc0 .LBB3_349
.LBB3_274:                              ; =>This Loop Header: Depth=1
                                        ;     Child Loop BB3_283 Depth 2
                                        ;     Child Loop BB3_279 Depth 2
	;; [unrolled: 1-line block ×11, first 2 shown]
	v_cmp_lt_u64_e64 s4, s[14:15], 56
	v_cmp_gt_u64_e64 s5, s[14:15], 7
                                        ; implicit-def: $vgpr11_vgpr12
                                        ; implicit-def: $sgpr23
	s_and_b32 s4, s4, exec_lo
	s_cselect_b32 s17, s15, 0
	s_cselect_b32 s16, s14, 56
	s_and_b32 vcc_lo, exec_lo, s5
	s_mov_b32 s4, -1
	s_cbranch_vccz .LBB3_281
; %bb.275:                              ;   in Loop: Header=BB3_274 Depth=1
	s_andn2_b32 vcc_lo, exec_lo, s4
	s_mov_b64 s[4:5], s[8:9]
	s_cbranch_vccz .LBB3_285
.LBB3_276:                              ;   in Loop: Header=BB3_274 Depth=1
	s_cmp_gt_u32 s23, 7
	s_cbranch_scc1 .LBB3_286
.LBB3_277:                              ;   in Loop: Header=BB3_274 Depth=1
	v_mov_b32_e32 v13, 0
	v_mov_b32_e32 v14, 0
	s_cmp_eq_u32 s23, 0
	s_cbranch_scc1 .LBB3_280
; %bb.278:                              ;   in Loop: Header=BB3_274 Depth=1
	s_mov_b64 s[18:19], 0
	s_mov_b64 s[20:21], 0
.LBB3_279:                              ;   Parent Loop BB3_274 Depth=1
                                        ; =>  This Inner Loop Header: Depth=2
	s_add_u32 s24, s4, s20
	s_addc_u32 s25, s5, s21
	s_add_u32 s20, s20, 1
	global_load_ubyte v4, v6, s[24:25]
	s_addc_u32 s21, s21, 0
	s_waitcnt vmcnt(0)
	v_and_b32_e32 v5, 0xffff, v4
	v_lshlrev_b64 v[4:5], s18, v[5:6]
	s_add_u32 s18, s18, 8
	s_addc_u32 s19, s19, 0
	s_cmp_lg_u32 s23, s20
	v_or_b32_e32 v13, v4, v13
	v_or_b32_e32 v14, v5, v14
	s_cbranch_scc1 .LBB3_279
.LBB3_280:                              ;   in Loop: Header=BB3_274 Depth=1
	s_mov_b32 s24, 0
	s_cbranch_execz .LBB3_287
	s_branch .LBB3_288
.LBB3_281:                              ;   in Loop: Header=BB3_274 Depth=1
	v_mov_b32_e32 v11, 0
	v_mov_b32_e32 v12, 0
	s_cmp_eq_u64 s[14:15], 0
	s_mov_b64 s[4:5], 0
	s_cbranch_scc1 .LBB3_284
; %bb.282:                              ;   in Loop: Header=BB3_274 Depth=1
	v_mov_b32_e32 v11, 0
	v_mov_b32_e32 v12, 0
	s_lshl_b64 s[18:19], s[16:17], 3
	s_mov_b64 s[20:21], s[8:9]
.LBB3_283:                              ;   Parent Loop BB3_274 Depth=1
                                        ; =>  This Inner Loop Header: Depth=2
	global_load_ubyte v4, v6, s[20:21]
	s_waitcnt vmcnt(0)
	v_and_b32_e32 v5, 0xffff, v4
	v_lshlrev_b64 v[4:5], s4, v[5:6]
	s_add_u32 s4, s4, 8
	s_addc_u32 s5, s5, 0
	s_add_u32 s20, s20, 1
	s_addc_u32 s21, s21, 0
	s_cmp_lg_u32 s18, s4
	v_or_b32_e32 v11, v4, v11
	v_or_b32_e32 v12, v5, v12
	s_cbranch_scc1 .LBB3_283
.LBB3_284:                              ;   in Loop: Header=BB3_274 Depth=1
	s_mov_b32 s23, 0
	s_mov_b64 s[4:5], s[8:9]
	s_cbranch_execnz .LBB3_276
.LBB3_285:                              ;   in Loop: Header=BB3_274 Depth=1
	global_load_dwordx2 v[11:12], v6, s[8:9]
	s_add_i32 s23, s16, -8
	s_add_u32 s4, s8, 8
	s_addc_u32 s5, s9, 0
	s_cmp_gt_u32 s23, 7
	s_cbranch_scc0 .LBB3_277
.LBB3_286:                              ;   in Loop: Header=BB3_274 Depth=1
                                        ; implicit-def: $vgpr13_vgpr14
                                        ; implicit-def: $sgpr24
.LBB3_287:                              ;   in Loop: Header=BB3_274 Depth=1
	global_load_dwordx2 v[13:14], v6, s[4:5]
	s_add_i32 s24, s23, -8
	s_add_u32 s4, s4, 8
	s_addc_u32 s5, s5, 0
.LBB3_288:                              ;   in Loop: Header=BB3_274 Depth=1
	s_cmp_gt_u32 s24, 7
	s_cbranch_scc1 .LBB3_293
; %bb.289:                              ;   in Loop: Header=BB3_274 Depth=1
	v_mov_b32_e32 v15, 0
	v_mov_b32_e32 v16, 0
	s_cmp_eq_u32 s24, 0
	s_cbranch_scc1 .LBB3_292
; %bb.290:                              ;   in Loop: Header=BB3_274 Depth=1
	s_mov_b64 s[18:19], 0
	s_mov_b64 s[20:21], 0
.LBB3_291:                              ;   Parent Loop BB3_274 Depth=1
                                        ; =>  This Inner Loop Header: Depth=2
	s_add_u32 s28, s4, s20
	s_addc_u32 s29, s5, s21
	s_add_u32 s20, s20, 1
	global_load_ubyte v4, v6, s[28:29]
	s_addc_u32 s21, s21, 0
	s_waitcnt vmcnt(0)
	v_and_b32_e32 v5, 0xffff, v4
	v_lshlrev_b64 v[4:5], s18, v[5:6]
	s_add_u32 s18, s18, 8
	s_addc_u32 s19, s19, 0
	s_cmp_lg_u32 s24, s20
	v_or_b32_e32 v15, v4, v15
	v_or_b32_e32 v16, v5, v16
	s_cbranch_scc1 .LBB3_291
.LBB3_292:                              ;   in Loop: Header=BB3_274 Depth=1
	s_mov_b32 s23, 0
	s_cbranch_execz .LBB3_294
	s_branch .LBB3_295
.LBB3_293:                              ;   in Loop: Header=BB3_274 Depth=1
                                        ; implicit-def: $sgpr23
.LBB3_294:                              ;   in Loop: Header=BB3_274 Depth=1
	global_load_dwordx2 v[15:16], v6, s[4:5]
	s_add_i32 s23, s24, -8
	s_add_u32 s4, s4, 8
	s_addc_u32 s5, s5, 0
.LBB3_295:                              ;   in Loop: Header=BB3_274 Depth=1
	s_cmp_gt_u32 s23, 7
	s_cbranch_scc1 .LBB3_300
; %bb.296:                              ;   in Loop: Header=BB3_274 Depth=1
	v_mov_b32_e32 v17, 0
	v_mov_b32_e32 v18, 0
	s_cmp_eq_u32 s23, 0
	s_cbranch_scc1 .LBB3_299
; %bb.297:                              ;   in Loop: Header=BB3_274 Depth=1
	s_mov_b64 s[18:19], 0
	s_mov_b64 s[20:21], 0
.LBB3_298:                              ;   Parent Loop BB3_274 Depth=1
                                        ; =>  This Inner Loop Header: Depth=2
	s_add_u32 s24, s4, s20
	s_addc_u32 s25, s5, s21
	s_add_u32 s20, s20, 1
	global_load_ubyte v4, v6, s[24:25]
	s_addc_u32 s21, s21, 0
	s_waitcnt vmcnt(0)
	v_and_b32_e32 v5, 0xffff, v4
	v_lshlrev_b64 v[4:5], s18, v[5:6]
	s_add_u32 s18, s18, 8
	s_addc_u32 s19, s19, 0
	s_cmp_lg_u32 s23, s20
	v_or_b32_e32 v17, v4, v17
	v_or_b32_e32 v18, v5, v18
	s_cbranch_scc1 .LBB3_298
.LBB3_299:                              ;   in Loop: Header=BB3_274 Depth=1
	s_mov_b32 s24, 0
	s_cbranch_execz .LBB3_301
	s_branch .LBB3_302
.LBB3_300:                              ;   in Loop: Header=BB3_274 Depth=1
                                        ; implicit-def: $vgpr17_vgpr18
                                        ; implicit-def: $sgpr24
.LBB3_301:                              ;   in Loop: Header=BB3_274 Depth=1
	global_load_dwordx2 v[17:18], v6, s[4:5]
	s_add_i32 s24, s23, -8
	s_add_u32 s4, s4, 8
	s_addc_u32 s5, s5, 0
.LBB3_302:                              ;   in Loop: Header=BB3_274 Depth=1
	s_cmp_gt_u32 s24, 7
	s_cbranch_scc1 .LBB3_307
; %bb.303:                              ;   in Loop: Header=BB3_274 Depth=1
	v_mov_b32_e32 v19, 0
	v_mov_b32_e32 v20, 0
	s_cmp_eq_u32 s24, 0
	s_cbranch_scc1 .LBB3_306
; %bb.304:                              ;   in Loop: Header=BB3_274 Depth=1
	s_mov_b64 s[18:19], 0
	s_mov_b64 s[20:21], 0
.LBB3_305:                              ;   Parent Loop BB3_274 Depth=1
                                        ; =>  This Inner Loop Header: Depth=2
	s_add_u32 s28, s4, s20
	s_addc_u32 s29, s5, s21
	s_add_u32 s20, s20, 1
	global_load_ubyte v4, v6, s[28:29]
	s_addc_u32 s21, s21, 0
	s_waitcnt vmcnt(0)
	v_and_b32_e32 v5, 0xffff, v4
	v_lshlrev_b64 v[4:5], s18, v[5:6]
	s_add_u32 s18, s18, 8
	s_addc_u32 s19, s19, 0
	s_cmp_lg_u32 s24, s20
	v_or_b32_e32 v19, v4, v19
	v_or_b32_e32 v20, v5, v20
	s_cbranch_scc1 .LBB3_305
.LBB3_306:                              ;   in Loop: Header=BB3_274 Depth=1
	s_mov_b32 s23, 0
	s_cbranch_execz .LBB3_308
	s_branch .LBB3_309
.LBB3_307:                              ;   in Loop: Header=BB3_274 Depth=1
                                        ; implicit-def: $sgpr23
.LBB3_308:                              ;   in Loop: Header=BB3_274 Depth=1
	global_load_dwordx2 v[19:20], v6, s[4:5]
	s_add_i32 s23, s24, -8
	s_add_u32 s4, s4, 8
	s_addc_u32 s5, s5, 0
.LBB3_309:                              ;   in Loop: Header=BB3_274 Depth=1
	s_cmp_gt_u32 s23, 7
	s_cbranch_scc1 .LBB3_314
; %bb.310:                              ;   in Loop: Header=BB3_274 Depth=1
	v_mov_b32_e32 v21, 0
	v_mov_b32_e32 v22, 0
	s_cmp_eq_u32 s23, 0
	s_cbranch_scc1 .LBB3_313
; %bb.311:                              ;   in Loop: Header=BB3_274 Depth=1
	s_mov_b64 s[18:19], 0
	s_mov_b64 s[20:21], 0
.LBB3_312:                              ;   Parent Loop BB3_274 Depth=1
                                        ; =>  This Inner Loop Header: Depth=2
	s_add_u32 s24, s4, s20
	s_addc_u32 s25, s5, s21
	s_add_u32 s20, s20, 1
	global_load_ubyte v4, v6, s[24:25]
	s_addc_u32 s21, s21, 0
	s_waitcnt vmcnt(0)
	v_and_b32_e32 v5, 0xffff, v4
	v_lshlrev_b64 v[4:5], s18, v[5:6]
	s_add_u32 s18, s18, 8
	s_addc_u32 s19, s19, 0
	s_cmp_lg_u32 s23, s20
	v_or_b32_e32 v21, v4, v21
	v_or_b32_e32 v22, v5, v22
	s_cbranch_scc1 .LBB3_312
.LBB3_313:                              ;   in Loop: Header=BB3_274 Depth=1
	s_mov_b32 s24, 0
	s_cbranch_execz .LBB3_315
	s_branch .LBB3_316
.LBB3_314:                              ;   in Loop: Header=BB3_274 Depth=1
                                        ; implicit-def: $vgpr21_vgpr22
                                        ; implicit-def: $sgpr24
.LBB3_315:                              ;   in Loop: Header=BB3_274 Depth=1
	global_load_dwordx2 v[21:22], v6, s[4:5]
	s_add_i32 s24, s23, -8
	s_add_u32 s4, s4, 8
	s_addc_u32 s5, s5, 0
.LBB3_316:                              ;   in Loop: Header=BB3_274 Depth=1
	s_cmp_gt_u32 s24, 7
	s_cbranch_scc1 .LBB3_321
; %bb.317:                              ;   in Loop: Header=BB3_274 Depth=1
	v_mov_b32_e32 v23, 0
	v_mov_b32_e32 v24, 0
	s_cmp_eq_u32 s24, 0
	s_cbranch_scc1 .LBB3_320
; %bb.318:                              ;   in Loop: Header=BB3_274 Depth=1
	s_mov_b64 s[18:19], 0
	s_mov_b64 s[20:21], s[4:5]
.LBB3_319:                              ;   Parent Loop BB3_274 Depth=1
                                        ; =>  This Inner Loop Header: Depth=2
	global_load_ubyte v4, v6, s[20:21]
	s_add_i32 s24, s24, -1
	s_waitcnt vmcnt(0)
	v_and_b32_e32 v5, 0xffff, v4
	v_lshlrev_b64 v[4:5], s18, v[5:6]
	s_add_u32 s18, s18, 8
	s_addc_u32 s19, s19, 0
	s_add_u32 s20, s20, 1
	s_addc_u32 s21, s21, 0
	s_cmp_lg_u32 s24, 0
	v_or_b32_e32 v23, v4, v23
	v_or_b32_e32 v24, v5, v24
	s_cbranch_scc1 .LBB3_319
.LBB3_320:                              ;   in Loop: Header=BB3_274 Depth=1
	s_cbranch_execz .LBB3_322
	s_branch .LBB3_323
.LBB3_321:                              ;   in Loop: Header=BB3_274 Depth=1
.LBB3_322:                              ;   in Loop: Header=BB3_274 Depth=1
	global_load_dwordx2 v[23:24], v6, s[4:5]
.LBB3_323:                              ;   in Loop: Header=BB3_274 Depth=1
	v_readfirstlane_b32 s4, v37
	s_waitcnt vmcnt(0)
	v_mov_b32_e32 v4, 0
	v_mov_b32_e32 v5, 0
	v_cmp_eq_u32_e64 s4, s4, v37
	s_and_saveexec_b32 s5, s4
	s_cbranch_execz .LBB3_329
; %bb.324:                              ;   in Loop: Header=BB3_274 Depth=1
	global_load_dwordx2 v[27:28], v6, s[26:27] offset:24 glc dlc
	s_waitcnt vmcnt(0)
	buffer_gl1_inv
	buffer_gl0_inv
	s_clause 0x1
	global_load_dwordx2 v[4:5], v6, s[26:27] offset:40
	global_load_dwordx2 v[9:10], v6, s[26:27]
	s_mov_b32 s18, exec_lo
	s_waitcnt vmcnt(1)
	v_and_b32_e32 v5, v5, v28
	v_and_b32_e32 v4, v4, v27
	v_mul_lo_u32 v5, v5, 24
	v_mul_hi_u32 v25, v4, 24
	v_mul_lo_u32 v4, v4, 24
	v_add_nc_u32_e32 v5, v25, v5
	s_waitcnt vmcnt(0)
	v_add_co_u32 v4, vcc_lo, v9, v4
	v_add_co_ci_u32_e32 v5, vcc_lo, v10, v5, vcc_lo
	global_load_dwordx2 v[25:26], v[4:5], off glc dlc
	s_waitcnt vmcnt(0)
	global_atomic_cmpswap_x2 v[4:5], v6, v[25:28], s[26:27] offset:24 glc
	s_waitcnt vmcnt(0)
	buffer_gl1_inv
	buffer_gl0_inv
	v_cmpx_ne_u64_e64 v[4:5], v[27:28]
	s_cbranch_execz .LBB3_328
; %bb.325:                              ;   in Loop: Header=BB3_274 Depth=1
	s_mov_b32 s19, 0
	.p2align	6
.LBB3_326:                              ;   Parent Loop BB3_274 Depth=1
                                        ; =>  This Inner Loop Header: Depth=2
	s_sleep 1
	s_clause 0x1
	global_load_dwordx2 v[9:10], v6, s[26:27] offset:40
	global_load_dwordx2 v[25:26], v6, s[26:27]
	v_mov_b32_e32 v28, v5
	v_mov_b32_e32 v27, v4
	s_waitcnt vmcnt(1)
	v_and_b32_e32 v4, v9, v27
	v_and_b32_e32 v9, v10, v28
	s_waitcnt vmcnt(0)
	v_mad_u64_u32 v[4:5], null, v4, 24, v[25:26]
	v_mad_u64_u32 v[9:10], null, v9, 24, v[5:6]
	v_mov_b32_e32 v5, v9
	global_load_dwordx2 v[25:26], v[4:5], off glc dlc
	s_waitcnt vmcnt(0)
	global_atomic_cmpswap_x2 v[4:5], v6, v[25:28], s[26:27] offset:24 glc
	s_waitcnt vmcnt(0)
	buffer_gl1_inv
	buffer_gl0_inv
	v_cmp_eq_u64_e32 vcc_lo, v[4:5], v[27:28]
	s_or_b32 s19, vcc_lo, s19
	s_andn2_b32 exec_lo, exec_lo, s19
	s_cbranch_execnz .LBB3_326
; %bb.327:                              ;   in Loop: Header=BB3_274 Depth=1
	s_or_b32 exec_lo, exec_lo, s19
.LBB3_328:                              ;   in Loop: Header=BB3_274 Depth=1
	s_or_b32 exec_lo, exec_lo, s18
.LBB3_329:                              ;   in Loop: Header=BB3_274 Depth=1
	s_or_b32 exec_lo, exec_lo, s5
	s_clause 0x1
	global_load_dwordx2 v[9:10], v6, s[26:27] offset:40
	global_load_dwordx4 v[25:28], v6, s[26:27]
	v_readfirstlane_b32 s18, v4
	v_readfirstlane_b32 s19, v5
	s_mov_b32 s5, exec_lo
	s_waitcnt vmcnt(1)
	v_readfirstlane_b32 s20, v9
	v_readfirstlane_b32 s21, v10
	s_and_b64 s[20:21], s[18:19], s[20:21]
	s_mul_i32 s23, s21, 24
	s_mul_hi_u32 s24, s20, 24
	s_mul_i32 s25, s20, 24
	s_add_i32 s24, s24, s23
	s_waitcnt vmcnt(0)
	v_add_co_u32 v29, vcc_lo, v25, s25
	v_add_co_ci_u32_e32 v30, vcc_lo, s24, v26, vcc_lo
	s_and_saveexec_b32 s23, s4
	s_cbranch_execz .LBB3_331
; %bb.330:                              ;   in Loop: Header=BB3_274 Depth=1
	v_mov_b32_e32 v5, s5
	global_store_dwordx4 v[29:30], v[5:8], off offset:8
.LBB3_331:                              ;   in Loop: Header=BB3_274 Depth=1
	s_or_b32 exec_lo, exec_lo, s23
	s_lshl_b64 s[20:21], s[20:21], 12
	v_cmp_gt_u64_e64 vcc_lo, s[14:15], 56
	v_or_b32_e32 v5, v2, v31
	v_add_co_u32 v27, s5, v27, s20
	v_add_co_ci_u32_e64 v28, s5, s21, v28, s5
	s_lshl_b32 s5, s16, 2
	v_or_b32_e32 v4, 0, v3
	v_cndmask_b32_e32 v2, v5, v2, vcc_lo
	s_add_i32 s5, s5, 28
	v_readfirstlane_b32 s20, v27
	s_and_b32 s5, s5, 0x1e0
	v_cndmask_b32_e32 v10, v4, v3, vcc_lo
	v_readfirstlane_b32 s21, v28
	v_and_or_b32 v9, 0xffffff1f, v2, s5
	global_store_dwordx4 v36, v[9:12], s[20:21]
	global_store_dwordx4 v36, v[13:16], s[20:21] offset:16
	global_store_dwordx4 v36, v[17:20], s[20:21] offset:32
	;; [unrolled: 1-line block ×3, first 2 shown]
	s_and_saveexec_b32 s5, s4
	s_cbranch_execz .LBB3_339
; %bb.332:                              ;   in Loop: Header=BB3_274 Depth=1
	s_clause 0x1
	global_load_dwordx2 v[13:14], v6, s[26:27] offset:32 glc dlc
	global_load_dwordx2 v[2:3], v6, s[26:27] offset:40
	v_mov_b32_e32 v11, s18
	v_mov_b32_e32 v12, s19
	s_waitcnt vmcnt(0)
	v_readfirstlane_b32 s20, v2
	v_readfirstlane_b32 s21, v3
	s_and_b64 s[20:21], s[20:21], s[18:19]
	s_mul_i32 s21, s21, 24
	s_mul_hi_u32 s23, s20, 24
	s_mul_i32 s20, s20, 24
	s_add_i32 s23, s23, s21
	v_add_co_u32 v9, vcc_lo, v25, s20
	v_add_co_ci_u32_e32 v10, vcc_lo, s23, v26, vcc_lo
	s_mov_b32 s20, exec_lo
	global_store_dwordx2 v[9:10], v[13:14], off
	s_waitcnt_vscnt null, 0x0
	global_atomic_cmpswap_x2 v[4:5], v6, v[11:14], s[26:27] offset:32 glc
	s_waitcnt vmcnt(0)
	v_cmpx_ne_u64_e64 v[4:5], v[13:14]
	s_cbranch_execz .LBB3_335
; %bb.333:                              ;   in Loop: Header=BB3_274 Depth=1
	s_mov_b32 s21, 0
.LBB3_334:                              ;   Parent Loop BB3_274 Depth=1
                                        ; =>  This Inner Loop Header: Depth=2
	v_mov_b32_e32 v2, s18
	v_mov_b32_e32 v3, s19
	s_sleep 1
	global_store_dwordx2 v[9:10], v[4:5], off
	s_waitcnt_vscnt null, 0x0
	global_atomic_cmpswap_x2 v[2:3], v6, v[2:5], s[26:27] offset:32 glc
	s_waitcnt vmcnt(0)
	v_cmp_eq_u64_e32 vcc_lo, v[2:3], v[4:5]
	v_mov_b32_e32 v5, v3
	v_mov_b32_e32 v4, v2
	s_or_b32 s21, vcc_lo, s21
	s_andn2_b32 exec_lo, exec_lo, s21
	s_cbranch_execnz .LBB3_334
.LBB3_335:                              ;   in Loop: Header=BB3_274 Depth=1
	s_or_b32 exec_lo, exec_lo, s20
	global_load_dwordx2 v[2:3], v6, s[26:27] offset:16
	s_mov_b32 s21, exec_lo
	s_mov_b32 s20, exec_lo
	v_mbcnt_lo_u32_b32 v4, s21, 0
	v_cmpx_eq_u32_e32 0, v4
	s_cbranch_execz .LBB3_337
; %bb.336:                              ;   in Loop: Header=BB3_274 Depth=1
	s_bcnt1_i32_b32 s21, s21
	v_mov_b32_e32 v5, s21
	s_waitcnt vmcnt(0)
	global_atomic_add_x2 v[2:3], v[5:6], off offset:8
.LBB3_337:                              ;   in Loop: Header=BB3_274 Depth=1
	s_or_b32 exec_lo, exec_lo, s20
	s_waitcnt vmcnt(0)
	global_load_dwordx2 v[9:10], v[2:3], off offset:16
	s_waitcnt vmcnt(0)
	v_cmp_eq_u64_e32 vcc_lo, 0, v[9:10]
	s_cbranch_vccnz .LBB3_339
; %bb.338:                              ;   in Loop: Header=BB3_274 Depth=1
	global_load_dword v5, v[2:3], off offset:24
	s_waitcnt vmcnt(0)
	v_and_b32_e32 v2, 0x7fffff, v5
	s_waitcnt_vscnt null, 0x0
	global_store_dwordx2 v[9:10], v[5:6], off
	v_readfirstlane_b32 m0, v2
	s_sendmsg sendmsg(MSG_INTERRUPT)
.LBB3_339:                              ;   in Loop: Header=BB3_274 Depth=1
	s_or_b32 exec_lo, exec_lo, s5
	v_add_co_u32 v2, vcc_lo, v27, v36
	v_add_co_ci_u32_e32 v3, vcc_lo, 0, v28, vcc_lo
	s_branch .LBB3_343
	.p2align	6
.LBB3_340:                              ;   in Loop: Header=BB3_343 Depth=2
	s_or_b32 exec_lo, exec_lo, s5
	v_readfirstlane_b32 s5, v4
	s_cmp_eq_u32 s5, 0
	s_cbranch_scc1 .LBB3_342
; %bb.341:                              ;   in Loop: Header=BB3_343 Depth=2
	s_sleep 1
	s_cbranch_execnz .LBB3_343
	s_branch .LBB3_345
	.p2align	6
.LBB3_342:                              ;   in Loop: Header=BB3_274 Depth=1
	s_branch .LBB3_345
.LBB3_343:                              ;   Parent Loop BB3_274 Depth=1
                                        ; =>  This Inner Loop Header: Depth=2
	v_mov_b32_e32 v4, 1
	s_and_saveexec_b32 s5, s4
	s_cbranch_execz .LBB3_340
; %bb.344:                              ;   in Loop: Header=BB3_343 Depth=2
	global_load_dword v4, v[29:30], off offset:20 glc dlc
	s_waitcnt vmcnt(0)
	buffer_gl1_inv
	buffer_gl0_inv
	v_and_b32_e32 v4, 1, v4
	s_branch .LBB3_340
.LBB3_345:                              ;   in Loop: Header=BB3_274 Depth=1
	global_load_dwordx4 v[2:5], v[2:3], off
	s_and_saveexec_b32 s5, s4
	s_cbranch_execz .LBB3_273
; %bb.346:                              ;   in Loop: Header=BB3_274 Depth=1
	s_clause 0x2
	global_load_dwordx2 v[4:5], v6, s[26:27] offset:40
	global_load_dwordx2 v[13:14], v6, s[26:27] offset:24 glc dlc
	global_load_dwordx2 v[11:12], v6, s[26:27]
	s_waitcnt vmcnt(2)
	v_add_co_u32 v15, vcc_lo, v4, 1
	v_add_co_ci_u32_e32 v16, vcc_lo, 0, v5, vcc_lo
	v_add_co_u32 v9, vcc_lo, v15, s18
	v_add_co_ci_u32_e32 v10, vcc_lo, s19, v16, vcc_lo
	v_cmp_eq_u64_e32 vcc_lo, 0, v[9:10]
	v_cndmask_b32_e32 v10, v10, v16, vcc_lo
	v_cndmask_b32_e32 v9, v9, v15, vcc_lo
	v_and_b32_e32 v5, v10, v5
	v_and_b32_e32 v4, v9, v4
	v_mul_lo_u32 v5, v5, 24
	v_mul_hi_u32 v15, v4, 24
	v_mul_lo_u32 v4, v4, 24
	v_add_nc_u32_e32 v5, v15, v5
	s_waitcnt vmcnt(0)
	v_add_co_u32 v4, vcc_lo, v11, v4
	v_mov_b32_e32 v11, v13
	v_add_co_ci_u32_e32 v5, vcc_lo, v12, v5, vcc_lo
	v_mov_b32_e32 v12, v14
	global_store_dwordx2 v[4:5], v[13:14], off
	s_waitcnt_vscnt null, 0x0
	global_atomic_cmpswap_x2 v[11:12], v6, v[9:12], s[26:27] offset:24 glc
	s_waitcnt vmcnt(0)
	v_cmp_ne_u64_e32 vcc_lo, v[11:12], v[13:14]
	s_and_b32 exec_lo, exec_lo, vcc_lo
	s_cbranch_execz .LBB3_273
; %bb.347:                              ;   in Loop: Header=BB3_274 Depth=1
	s_mov_b32 s4, 0
.LBB3_348:                              ;   Parent Loop BB3_274 Depth=1
                                        ; =>  This Inner Loop Header: Depth=2
	s_sleep 1
	global_store_dwordx2 v[4:5], v[11:12], off
	s_waitcnt_vscnt null, 0x0
	global_atomic_cmpswap_x2 v[13:14], v6, v[9:12], s[26:27] offset:24 glc
	s_waitcnt vmcnt(0)
	v_cmp_eq_u64_e32 vcc_lo, v[13:14], v[11:12]
	v_mov_b32_e32 v11, v13
	v_mov_b32_e32 v12, v14
	s_or_b32 s4, vcc_lo, s4
	s_andn2_b32 exec_lo, exec_lo, s4
	s_cbranch_execnz .LBB3_348
	s_branch .LBB3_273
.LBB3_349:
	s_branch .LBB3_378
.LBB3_350:
                                        ; implicit-def: $vgpr2_vgpr3
	s_cbranch_execz .LBB3_378
; %bb.351:
	v_readfirstlane_b32 s4, v37
	v_mov_b32_e32 v8, 0
	v_mov_b32_e32 v9, 0
	v_cmp_eq_u32_e64 s4, s4, v37
	s_and_saveexec_b32 s5, s4
	s_cbranch_execz .LBB3_357
; %bb.352:
	s_waitcnt vmcnt(0)
	v_mov_b32_e32 v2, 0
	s_mov_b32 s8, exec_lo
	global_load_dwordx2 v[5:6], v2, s[26:27] offset:24 glc dlc
	s_waitcnt vmcnt(0)
	buffer_gl1_inv
	buffer_gl0_inv
	s_clause 0x1
	global_load_dwordx2 v[3:4], v2, s[26:27] offset:40
	global_load_dwordx2 v[7:8], v2, s[26:27]
	s_waitcnt vmcnt(1)
	v_and_b32_e32 v4, v4, v6
	v_and_b32_e32 v3, v3, v5
	v_mul_lo_u32 v4, v4, 24
	v_mul_hi_u32 v9, v3, 24
	v_mul_lo_u32 v3, v3, 24
	v_add_nc_u32_e32 v4, v9, v4
	s_waitcnt vmcnt(0)
	v_add_co_u32 v3, vcc_lo, v7, v3
	v_add_co_ci_u32_e32 v4, vcc_lo, v8, v4, vcc_lo
	global_load_dwordx2 v[3:4], v[3:4], off glc dlc
	s_waitcnt vmcnt(0)
	global_atomic_cmpswap_x2 v[8:9], v2, v[3:6], s[26:27] offset:24 glc
	s_waitcnt vmcnt(0)
	buffer_gl1_inv
	buffer_gl0_inv
	v_cmpx_ne_u64_e64 v[8:9], v[5:6]
	s_cbranch_execz .LBB3_356
; %bb.353:
	s_mov_b32 s9, 0
	.p2align	6
.LBB3_354:                              ; =>This Inner Loop Header: Depth=1
	s_sleep 1
	s_clause 0x1
	global_load_dwordx2 v[3:4], v2, s[26:27] offset:40
	global_load_dwordx2 v[10:11], v2, s[26:27]
	v_mov_b32_e32 v5, v8
	v_mov_b32_e32 v6, v9
	s_waitcnt vmcnt(1)
	v_and_b32_e32 v3, v3, v5
	v_and_b32_e32 v4, v4, v6
	s_waitcnt vmcnt(0)
	v_mad_u64_u32 v[7:8], null, v3, 24, v[10:11]
	v_mov_b32_e32 v3, v8
	v_mad_u64_u32 v[3:4], null, v4, 24, v[3:4]
	v_mov_b32_e32 v8, v3
	global_load_dwordx2 v[3:4], v[7:8], off glc dlc
	s_waitcnt vmcnt(0)
	global_atomic_cmpswap_x2 v[8:9], v2, v[3:6], s[26:27] offset:24 glc
	s_waitcnt vmcnt(0)
	buffer_gl1_inv
	buffer_gl0_inv
	v_cmp_eq_u64_e32 vcc_lo, v[8:9], v[5:6]
	s_or_b32 s9, vcc_lo, s9
	s_andn2_b32 exec_lo, exec_lo, s9
	s_cbranch_execnz .LBB3_354
; %bb.355:
	s_or_b32 exec_lo, exec_lo, s9
.LBB3_356:
	s_or_b32 exec_lo, exec_lo, s8
.LBB3_357:
	s_or_b32 exec_lo, exec_lo, s5
	s_waitcnt vmcnt(0)
	v_mov_b32_e32 v2, 0
	v_readfirstlane_b32 s8, v8
	v_readfirstlane_b32 s9, v9
	s_mov_b32 s5, exec_lo
	s_clause 0x1
	global_load_dwordx2 v[10:11], v2, s[26:27] offset:40
	global_load_dwordx4 v[4:7], v2, s[26:27]
	s_waitcnt vmcnt(1)
	v_readfirstlane_b32 s14, v10
	v_readfirstlane_b32 s15, v11
	s_and_b64 s[14:15], s[8:9], s[14:15]
	s_mul_i32 s16, s15, 24
	s_mul_hi_u32 s17, s14, 24
	s_mul_i32 s18, s14, 24
	s_add_i32 s17, s17, s16
	s_waitcnt vmcnt(0)
	v_add_co_u32 v8, vcc_lo, v4, s18
	v_add_co_ci_u32_e32 v9, vcc_lo, s17, v5, vcc_lo
	s_and_saveexec_b32 s16, s4
	s_cbranch_execz .LBB3_359
; %bb.358:
	v_mov_b32_e32 v10, s5
	v_mov_b32_e32 v11, v2
	;; [unrolled: 1-line block ×4, first 2 shown]
	global_store_dwordx4 v[8:9], v[10:13], off offset:8
.LBB3_359:
	s_or_b32 exec_lo, exec_lo, s16
	s_lshl_b64 s[14:15], s[14:15], 12
	s_mov_b32 s16, 0
	v_add_co_u32 v6, vcc_lo, v6, s14
	v_add_co_ci_u32_e32 v7, vcc_lo, s15, v7, vcc_lo
	s_mov_b32 s17, s16
	v_readfirstlane_b32 s14, v6
	v_add_co_u32 v6, vcc_lo, v6, v36
	s_mov_b32 s18, s16
	s_mov_b32 s19, s16
	v_and_or_b32 v0, 0xffffff1f, v0, 32
	v_mov_b32_e32 v3, v2
	v_readfirstlane_b32 s15, v7
	v_mov_b32_e32 v10, s16
	v_add_co_ci_u32_e32 v7, vcc_lo, 0, v7, vcc_lo
	v_mov_b32_e32 v11, s17
	v_mov_b32_e32 v12, s18
	;; [unrolled: 1-line block ×3, first 2 shown]
	global_store_dwordx4 v36, v[0:3], s[14:15]
	global_store_dwordx4 v36, v[10:13], s[14:15] offset:16
	global_store_dwordx4 v36, v[10:13], s[14:15] offset:32
	;; [unrolled: 1-line block ×3, first 2 shown]
	s_and_saveexec_b32 s5, s4
	s_cbranch_execz .LBB3_367
; %bb.360:
	v_mov_b32_e32 v10, 0
	v_mov_b32_e32 v11, s8
	;; [unrolled: 1-line block ×3, first 2 shown]
	s_clause 0x1
	global_load_dwordx2 v[13:14], v10, s[26:27] offset:32 glc dlc
	global_load_dwordx2 v[0:1], v10, s[26:27] offset:40
	s_waitcnt vmcnt(0)
	v_readfirstlane_b32 s14, v0
	v_readfirstlane_b32 s15, v1
	s_and_b64 s[14:15], s[14:15], s[8:9]
	s_mul_i32 s15, s15, 24
	s_mul_hi_u32 s16, s14, 24
	s_mul_i32 s14, s14, 24
	s_add_i32 s16, s16, s15
	v_add_co_u32 v4, vcc_lo, v4, s14
	v_add_co_ci_u32_e32 v5, vcc_lo, s16, v5, vcc_lo
	s_mov_b32 s14, exec_lo
	global_store_dwordx2 v[4:5], v[13:14], off
	s_waitcnt_vscnt null, 0x0
	global_atomic_cmpswap_x2 v[2:3], v10, v[11:14], s[26:27] offset:32 glc
	s_waitcnt vmcnt(0)
	v_cmpx_ne_u64_e64 v[2:3], v[13:14]
	s_cbranch_execz .LBB3_363
; %bb.361:
	s_mov_b32 s15, 0
.LBB3_362:                              ; =>This Inner Loop Header: Depth=1
	v_mov_b32_e32 v0, s8
	v_mov_b32_e32 v1, s9
	s_sleep 1
	global_store_dwordx2 v[4:5], v[2:3], off
	s_waitcnt_vscnt null, 0x0
	global_atomic_cmpswap_x2 v[0:1], v10, v[0:3], s[26:27] offset:32 glc
	s_waitcnt vmcnt(0)
	v_cmp_eq_u64_e32 vcc_lo, v[0:1], v[2:3]
	v_mov_b32_e32 v3, v1
	v_mov_b32_e32 v2, v0
	s_or_b32 s15, vcc_lo, s15
	s_andn2_b32 exec_lo, exec_lo, s15
	s_cbranch_execnz .LBB3_362
.LBB3_363:
	s_or_b32 exec_lo, exec_lo, s14
	v_mov_b32_e32 v3, 0
	s_mov_b32 s15, exec_lo
	s_mov_b32 s14, exec_lo
	v_mbcnt_lo_u32_b32 v2, s15, 0
	global_load_dwordx2 v[0:1], v3, s[26:27] offset:16
	v_cmpx_eq_u32_e32 0, v2
	s_cbranch_execz .LBB3_365
; %bb.364:
	s_bcnt1_i32_b32 s15, s15
	v_mov_b32_e32 v2, s15
	s_waitcnt vmcnt(0)
	global_atomic_add_x2 v[0:1], v[2:3], off offset:8
.LBB3_365:
	s_or_b32 exec_lo, exec_lo, s14
	s_waitcnt vmcnt(0)
	global_load_dwordx2 v[2:3], v[0:1], off offset:16
	s_waitcnt vmcnt(0)
	v_cmp_eq_u64_e32 vcc_lo, 0, v[2:3]
	s_cbranch_vccnz .LBB3_367
; %bb.366:
	global_load_dword v0, v[0:1], off offset:24
	v_mov_b32_e32 v1, 0
	s_waitcnt vmcnt(0)
	v_and_b32_e32 v4, 0x7fffff, v0
	s_waitcnt_vscnt null, 0x0
	global_store_dwordx2 v[2:3], v[0:1], off
	v_readfirstlane_b32 m0, v4
	s_sendmsg sendmsg(MSG_INTERRUPT)
.LBB3_367:
	s_or_b32 exec_lo, exec_lo, s5
	s_branch .LBB3_371
	.p2align	6
.LBB3_368:                              ;   in Loop: Header=BB3_371 Depth=1
	s_or_b32 exec_lo, exec_lo, s5
	v_readfirstlane_b32 s5, v0
	s_cmp_eq_u32 s5, 0
	s_cbranch_scc1 .LBB3_370
; %bb.369:                              ;   in Loop: Header=BB3_371 Depth=1
	s_sleep 1
	s_cbranch_execnz .LBB3_371
	s_branch .LBB3_373
	.p2align	6
.LBB3_370:
	s_branch .LBB3_373
.LBB3_371:                              ; =>This Inner Loop Header: Depth=1
	v_mov_b32_e32 v0, 1
	s_and_saveexec_b32 s5, s4
	s_cbranch_execz .LBB3_368
; %bb.372:                              ;   in Loop: Header=BB3_371 Depth=1
	global_load_dword v0, v[8:9], off offset:20 glc dlc
	s_waitcnt vmcnt(0)
	buffer_gl1_inv
	buffer_gl0_inv
	v_and_b32_e32 v0, 1, v0
	s_branch .LBB3_368
.LBB3_373:
	global_load_dwordx2 v[2:3], v[6:7], off
	s_and_saveexec_b32 s5, s4
	s_cbranch_execz .LBB3_377
; %bb.374:
	v_mov_b32_e32 v8, 0
	s_clause 0x2
	global_load_dwordx2 v[0:1], v8, s[26:27] offset:40
	global_load_dwordx2 v[9:10], v8, s[26:27] offset:24 glc dlc
	global_load_dwordx2 v[6:7], v8, s[26:27]
	s_waitcnt vmcnt(2)
	v_add_co_u32 v11, vcc_lo, v0, 1
	v_add_co_ci_u32_e32 v12, vcc_lo, 0, v1, vcc_lo
	v_add_co_u32 v4, vcc_lo, v11, s8
	v_add_co_ci_u32_e32 v5, vcc_lo, s9, v12, vcc_lo
	v_cmp_eq_u64_e32 vcc_lo, 0, v[4:5]
	v_cndmask_b32_e32 v5, v5, v12, vcc_lo
	v_cndmask_b32_e32 v4, v4, v11, vcc_lo
	v_and_b32_e32 v1, v5, v1
	v_and_b32_e32 v0, v4, v0
	v_mul_lo_u32 v1, v1, 24
	v_mul_hi_u32 v11, v0, 24
	v_mul_lo_u32 v0, v0, 24
	v_add_nc_u32_e32 v1, v11, v1
	s_waitcnt vmcnt(0)
	v_add_co_u32 v0, vcc_lo, v6, v0
	v_mov_b32_e32 v6, v9
	v_add_co_ci_u32_e32 v1, vcc_lo, v7, v1, vcc_lo
	v_mov_b32_e32 v7, v10
	global_store_dwordx2 v[0:1], v[9:10], off
	s_waitcnt_vscnt null, 0x0
	global_atomic_cmpswap_x2 v[6:7], v8, v[4:7], s[26:27] offset:24 glc
	s_waitcnt vmcnt(0)
	v_cmp_ne_u64_e32 vcc_lo, v[6:7], v[9:10]
	s_and_b32 exec_lo, exec_lo, vcc_lo
	s_cbranch_execz .LBB3_377
; %bb.375:
	s_mov_b32 s4, 0
.LBB3_376:                              ; =>This Inner Loop Header: Depth=1
	s_sleep 1
	global_store_dwordx2 v[0:1], v[6:7], off
	s_waitcnt_vscnt null, 0x0
	global_atomic_cmpswap_x2 v[9:10], v8, v[4:7], s[26:27] offset:24 glc
	s_waitcnt vmcnt(0)
	v_cmp_eq_u64_e32 vcc_lo, v[9:10], v[6:7]
	v_mov_b32_e32 v6, v9
	v_mov_b32_e32 v7, v10
	s_or_b32 s4, vcc_lo, s4
	s_andn2_b32 exec_lo, exec_lo, s4
	s_cbranch_execnz .LBB3_376
.LBB3_377:
	s_or_b32 exec_lo, exec_lo, s5
.LBB3_378:
	v_readfirstlane_b32 s4, v37
	s_waitcnt vmcnt(0)
	v_mov_b32_e32 v0, 0
	v_mov_b32_e32 v1, 0
	v_cmp_eq_u32_e64 s4, s4, v37
	s_and_saveexec_b32 s5, s4
	s_cbranch_execz .LBB3_384
; %bb.379:
	v_mov_b32_e32 v4, 0
	s_mov_b32 s8, exec_lo
	global_load_dwordx2 v[7:8], v4, s[26:27] offset:24 glc dlc
	s_waitcnt vmcnt(0)
	buffer_gl1_inv
	buffer_gl0_inv
	s_clause 0x1
	global_load_dwordx2 v[0:1], v4, s[26:27] offset:40
	global_load_dwordx2 v[5:6], v4, s[26:27]
	s_waitcnt vmcnt(1)
	v_and_b32_e32 v1, v1, v8
	v_and_b32_e32 v0, v0, v7
	v_mul_lo_u32 v1, v1, 24
	v_mul_hi_u32 v9, v0, 24
	v_mul_lo_u32 v0, v0, 24
	v_add_nc_u32_e32 v1, v9, v1
	s_waitcnt vmcnt(0)
	v_add_co_u32 v0, vcc_lo, v5, v0
	v_add_co_ci_u32_e32 v1, vcc_lo, v6, v1, vcc_lo
	global_load_dwordx2 v[5:6], v[0:1], off glc dlc
	s_waitcnt vmcnt(0)
	global_atomic_cmpswap_x2 v[0:1], v4, v[5:8], s[26:27] offset:24 glc
	s_waitcnt vmcnt(0)
	buffer_gl1_inv
	buffer_gl0_inv
	v_cmpx_ne_u64_e64 v[0:1], v[7:8]
	s_cbranch_execz .LBB3_383
; %bb.380:
	s_mov_b32 s9, 0
	.p2align	6
.LBB3_381:                              ; =>This Inner Loop Header: Depth=1
	s_sleep 1
	s_clause 0x1
	global_load_dwordx2 v[5:6], v4, s[26:27] offset:40
	global_load_dwordx2 v[9:10], v4, s[26:27]
	v_mov_b32_e32 v8, v1
	v_mov_b32_e32 v7, v0
	s_waitcnt vmcnt(1)
	v_and_b32_e32 v0, v5, v7
	v_and_b32_e32 v5, v6, v8
	s_waitcnt vmcnt(0)
	v_mad_u64_u32 v[0:1], null, v0, 24, v[9:10]
	v_mad_u64_u32 v[5:6], null, v5, 24, v[1:2]
	v_mov_b32_e32 v1, v5
	global_load_dwordx2 v[5:6], v[0:1], off glc dlc
	s_waitcnt vmcnt(0)
	global_atomic_cmpswap_x2 v[0:1], v4, v[5:8], s[26:27] offset:24 glc
	s_waitcnt vmcnt(0)
	buffer_gl1_inv
	buffer_gl0_inv
	v_cmp_eq_u64_e32 vcc_lo, v[0:1], v[7:8]
	s_or_b32 s9, vcc_lo, s9
	s_andn2_b32 exec_lo, exec_lo, s9
	s_cbranch_execnz .LBB3_381
; %bb.382:
	s_or_b32 exec_lo, exec_lo, s9
.LBB3_383:
	s_or_b32 exec_lo, exec_lo, s8
.LBB3_384:
	s_or_b32 exec_lo, exec_lo, s5
	v_mov_b32_e32 v5, 0
	v_readfirstlane_b32 s8, v0
	v_readfirstlane_b32 s9, v1
	s_mov_b32 s5, exec_lo
	s_clause 0x1
	global_load_dwordx2 v[10:11], v5, s[26:27] offset:40
	global_load_dwordx4 v[6:9], v5, s[26:27]
	s_waitcnt vmcnt(1)
	v_readfirstlane_b32 s14, v10
	v_readfirstlane_b32 s15, v11
	s_and_b64 s[14:15], s[8:9], s[14:15]
	s_mul_i32 s16, s15, 24
	s_mul_hi_u32 s17, s14, 24
	s_mul_i32 s18, s14, 24
	s_add_i32 s17, s17, s16
	s_waitcnt vmcnt(0)
	v_add_co_u32 v10, vcc_lo, v6, s18
	v_add_co_ci_u32_e32 v11, vcc_lo, s17, v7, vcc_lo
	s_and_saveexec_b32 s16, s4
	s_cbranch_execz .LBB3_386
; %bb.385:
	v_mov_b32_e32 v4, s5
	v_mov_b32_e32 v13, v5
	;; [unrolled: 1-line block ×5, first 2 shown]
	global_store_dwordx4 v[10:11], v[12:15], off offset:8
.LBB3_386:
	s_or_b32 exec_lo, exec_lo, s16
	s_lshl_b64 s[14:15], s[14:15], 12
	s_mov_b32 s16, 0
	v_add_co_u32 v0, vcc_lo, v8, s14
	v_add_co_ci_u32_e32 v1, vcc_lo, s15, v9, vcc_lo
	s_mov_b32 s17, s16
	s_mov_b32 s18, s16
	;; [unrolled: 1-line block ×3, first 2 shown]
	v_and_or_b32 v2, 0xffffff1d, v2, 34
	v_mov_b32_e32 v4, 10
	v_readfirstlane_b32 s14, v0
	v_readfirstlane_b32 s15, v1
	v_mov_b32_e32 v12, s16
	v_mov_b32_e32 v13, s17
	;; [unrolled: 1-line block ×4, first 2 shown]
	global_store_dwordx4 v36, v[2:5], s[14:15]
	global_store_dwordx4 v36, v[12:15], s[14:15] offset:16
	global_store_dwordx4 v36, v[12:15], s[14:15] offset:32
	;; [unrolled: 1-line block ×3, first 2 shown]
	s_and_saveexec_b32 s5, s4
	s_cbranch_execz .LBB3_394
; %bb.387:
	v_mov_b32_e32 v8, 0
	v_mov_b32_e32 v12, s8
	v_mov_b32_e32 v13, s9
	s_clause 0x1
	global_load_dwordx2 v[14:15], v8, s[26:27] offset:32 glc dlc
	global_load_dwordx2 v[0:1], v8, s[26:27] offset:40
	s_waitcnt vmcnt(0)
	v_readfirstlane_b32 s14, v0
	v_readfirstlane_b32 s15, v1
	s_and_b64 s[14:15], s[14:15], s[8:9]
	s_mul_i32 s15, s15, 24
	s_mul_hi_u32 s16, s14, 24
	s_mul_i32 s14, s14, 24
	s_add_i32 s16, s16, s15
	v_add_co_u32 v4, vcc_lo, v6, s14
	v_add_co_ci_u32_e32 v5, vcc_lo, s16, v7, vcc_lo
	s_mov_b32 s14, exec_lo
	global_store_dwordx2 v[4:5], v[14:15], off
	s_waitcnt_vscnt null, 0x0
	global_atomic_cmpswap_x2 v[2:3], v8, v[12:15], s[26:27] offset:32 glc
	s_waitcnt vmcnt(0)
	v_cmpx_ne_u64_e64 v[2:3], v[14:15]
	s_cbranch_execz .LBB3_390
; %bb.388:
	s_mov_b32 s15, 0
.LBB3_389:                              ; =>This Inner Loop Header: Depth=1
	v_mov_b32_e32 v0, s8
	v_mov_b32_e32 v1, s9
	s_sleep 1
	global_store_dwordx2 v[4:5], v[2:3], off
	s_waitcnt_vscnt null, 0x0
	global_atomic_cmpswap_x2 v[0:1], v8, v[0:3], s[26:27] offset:32 glc
	s_waitcnt vmcnt(0)
	v_cmp_eq_u64_e32 vcc_lo, v[0:1], v[2:3]
	v_mov_b32_e32 v3, v1
	v_mov_b32_e32 v2, v0
	s_or_b32 s15, vcc_lo, s15
	s_andn2_b32 exec_lo, exec_lo, s15
	s_cbranch_execnz .LBB3_389
.LBB3_390:
	s_or_b32 exec_lo, exec_lo, s14
	v_mov_b32_e32 v3, 0
	s_mov_b32 s15, exec_lo
	s_mov_b32 s14, exec_lo
	v_mbcnt_lo_u32_b32 v2, s15, 0
	global_load_dwordx2 v[0:1], v3, s[26:27] offset:16
	v_cmpx_eq_u32_e32 0, v2
	s_cbranch_execz .LBB3_392
; %bb.391:
	s_bcnt1_i32_b32 s15, s15
	v_mov_b32_e32 v2, s15
	s_waitcnt vmcnt(0)
	global_atomic_add_x2 v[0:1], v[2:3], off offset:8
.LBB3_392:
	s_or_b32 exec_lo, exec_lo, s14
	s_waitcnt vmcnt(0)
	global_load_dwordx2 v[2:3], v[0:1], off offset:16
	s_waitcnt vmcnt(0)
	v_cmp_eq_u64_e32 vcc_lo, 0, v[2:3]
	s_cbranch_vccnz .LBB3_394
; %bb.393:
	global_load_dword v0, v[0:1], off offset:24
	v_mov_b32_e32 v1, 0
	s_waitcnt vmcnt(0)
	v_and_b32_e32 v4, 0x7fffff, v0
	s_waitcnt_vscnt null, 0x0
	global_store_dwordx2 v[2:3], v[0:1], off
	v_readfirstlane_b32 m0, v4
	s_sendmsg sendmsg(MSG_INTERRUPT)
.LBB3_394:
	s_or_b32 exec_lo, exec_lo, s5
	s_branch .LBB3_398
	.p2align	6
.LBB3_395:                              ;   in Loop: Header=BB3_398 Depth=1
	s_or_b32 exec_lo, exec_lo, s5
	v_readfirstlane_b32 s5, v0
	s_cmp_eq_u32 s5, 0
	s_cbranch_scc1 .LBB3_397
; %bb.396:                              ;   in Loop: Header=BB3_398 Depth=1
	s_sleep 1
	s_cbranch_execnz .LBB3_398
	s_branch .LBB3_400
	.p2align	6
.LBB3_397:
	s_branch .LBB3_400
.LBB3_398:                              ; =>This Inner Loop Header: Depth=1
	v_mov_b32_e32 v0, 1
	s_and_saveexec_b32 s5, s4
	s_cbranch_execz .LBB3_395
; %bb.399:                              ;   in Loop: Header=BB3_398 Depth=1
	global_load_dword v0, v[10:11], off offset:20 glc dlc
	s_waitcnt vmcnt(0)
	buffer_gl1_inv
	buffer_gl0_inv
	v_and_b32_e32 v0, 1, v0
	s_branch .LBB3_395
.LBB3_400:
	s_and_saveexec_b32 s5, s4
	s_cbranch_execz .LBB3_404
; %bb.401:
	v_mov_b32_e32 v6, 0
	s_clause 0x2
	global_load_dwordx2 v[2:3], v6, s[26:27] offset:40
	global_load_dwordx2 v[7:8], v6, s[26:27] offset:24 glc dlc
	global_load_dwordx2 v[4:5], v6, s[26:27]
	s_waitcnt vmcnt(2)
	v_add_co_u32 v9, vcc_lo, v2, 1
	v_add_co_ci_u32_e32 v10, vcc_lo, 0, v3, vcc_lo
	v_add_co_u32 v0, vcc_lo, v9, s8
	v_add_co_ci_u32_e32 v1, vcc_lo, s9, v10, vcc_lo
	v_cmp_eq_u64_e32 vcc_lo, 0, v[0:1]
	v_cndmask_b32_e32 v1, v1, v10, vcc_lo
	v_cndmask_b32_e32 v0, v0, v9, vcc_lo
	v_and_b32_e32 v3, v1, v3
	v_and_b32_e32 v2, v0, v2
	v_mul_lo_u32 v3, v3, 24
	v_mul_hi_u32 v9, v2, 24
	v_mul_lo_u32 v2, v2, 24
	v_add_nc_u32_e32 v3, v9, v3
	s_waitcnt vmcnt(0)
	v_add_co_u32 v4, vcc_lo, v4, v2
	v_mov_b32_e32 v2, v7
	v_add_co_ci_u32_e32 v5, vcc_lo, v5, v3, vcc_lo
	v_mov_b32_e32 v3, v8
	global_store_dwordx2 v[4:5], v[7:8], off
	s_waitcnt_vscnt null, 0x0
	global_atomic_cmpswap_x2 v[2:3], v6, v[0:3], s[26:27] offset:24 glc
	s_waitcnt vmcnt(0)
	v_cmp_ne_u64_e32 vcc_lo, v[2:3], v[7:8]
	s_and_b32 exec_lo, exec_lo, vcc_lo
	s_cbranch_execz .LBB3_404
; %bb.402:
	s_mov_b32 s4, 0
.LBB3_403:                              ; =>This Inner Loop Header: Depth=1
	s_sleep 1
	global_store_dwordx2 v[4:5], v[2:3], off
	s_waitcnt_vscnt null, 0x0
	global_atomic_cmpswap_x2 v[7:8], v6, v[0:3], s[26:27] offset:24 glc
	s_waitcnt vmcnt(0)
	v_cmp_eq_u64_e32 vcc_lo, v[7:8], v[2:3]
	v_mov_b32_e32 v2, v7
	v_mov_b32_e32 v3, v8
	s_or_b32 s4, vcc_lo, s4
	s_andn2_b32 exec_lo, exec_lo, s4
	s_cbranch_execnz .LBB3_403
.LBB3_404:
	s_or_b32 exec_lo, exec_lo, s5
	v_readfirstlane_b32 s4, v37
	v_mov_b32_e32 v6, 0
	v_mov_b32_e32 v7, 0
	v_cmp_eq_u32_e64 s4, s4, v37
	s_and_saveexec_b32 s5, s4
	s_cbranch_execz .LBB3_410
; %bb.405:
	v_mov_b32_e32 v0, 0
	s_mov_b32 s8, exec_lo
	global_load_dwordx2 v[3:4], v0, s[26:27] offset:24 glc dlc
	s_waitcnt vmcnt(0)
	buffer_gl1_inv
	buffer_gl0_inv
	s_clause 0x1
	global_load_dwordx2 v[1:2], v0, s[26:27] offset:40
	global_load_dwordx2 v[5:6], v0, s[26:27]
	s_waitcnt vmcnt(1)
	v_and_b32_e32 v2, v2, v4
	v_and_b32_e32 v1, v1, v3
	v_mul_lo_u32 v2, v2, 24
	v_mul_hi_u32 v7, v1, 24
	v_mul_lo_u32 v1, v1, 24
	v_add_nc_u32_e32 v2, v7, v2
	s_waitcnt vmcnt(0)
	v_add_co_u32 v1, vcc_lo, v5, v1
	v_add_co_ci_u32_e32 v2, vcc_lo, v6, v2, vcc_lo
	global_load_dwordx2 v[1:2], v[1:2], off glc dlc
	s_waitcnt vmcnt(0)
	global_atomic_cmpswap_x2 v[6:7], v0, v[1:4], s[26:27] offset:24 glc
	s_waitcnt vmcnt(0)
	buffer_gl1_inv
	buffer_gl0_inv
	v_cmpx_ne_u64_e64 v[6:7], v[3:4]
	s_cbranch_execz .LBB3_409
; %bb.406:
	s_mov_b32 s9, 0
	.p2align	6
.LBB3_407:                              ; =>This Inner Loop Header: Depth=1
	s_sleep 1
	s_clause 0x1
	global_load_dwordx2 v[1:2], v0, s[26:27] offset:40
	global_load_dwordx2 v[8:9], v0, s[26:27]
	v_mov_b32_e32 v3, v6
	v_mov_b32_e32 v4, v7
	s_waitcnt vmcnt(1)
	v_and_b32_e32 v1, v1, v3
	v_and_b32_e32 v2, v2, v4
	s_waitcnt vmcnt(0)
	v_mad_u64_u32 v[5:6], null, v1, 24, v[8:9]
	v_mov_b32_e32 v1, v6
	v_mad_u64_u32 v[1:2], null, v2, 24, v[1:2]
	v_mov_b32_e32 v6, v1
	global_load_dwordx2 v[1:2], v[5:6], off glc dlc
	s_waitcnt vmcnt(0)
	global_atomic_cmpswap_x2 v[6:7], v0, v[1:4], s[26:27] offset:24 glc
	s_waitcnt vmcnt(0)
	buffer_gl1_inv
	buffer_gl0_inv
	v_cmp_eq_u64_e32 vcc_lo, v[6:7], v[3:4]
	s_or_b32 s9, vcc_lo, s9
	s_andn2_b32 exec_lo, exec_lo, s9
	s_cbranch_execnz .LBB3_407
; %bb.408:
	s_or_b32 exec_lo, exec_lo, s9
.LBB3_409:
	s_or_b32 exec_lo, exec_lo, s8
.LBB3_410:
	s_or_b32 exec_lo, exec_lo, s5
	v_mov_b32_e32 v5, 0
	v_readfirstlane_b32 s8, v6
	v_readfirstlane_b32 s9, v7
	s_mov_b32 s5, exec_lo
	s_clause 0x1
	global_load_dwordx2 v[8:9], v5, s[26:27] offset:40
	global_load_dwordx4 v[0:3], v5, s[26:27]
	s_waitcnt vmcnt(1)
	v_readfirstlane_b32 s14, v8
	v_readfirstlane_b32 s15, v9
	s_and_b64 s[14:15], s[8:9], s[14:15]
	s_mul_i32 s16, s15, 24
	s_mul_hi_u32 s17, s14, 24
	s_mul_i32 s18, s14, 24
	s_add_i32 s17, s17, s16
	s_waitcnt vmcnt(0)
	v_add_co_u32 v8, vcc_lo, v0, s18
	v_add_co_ci_u32_e32 v9, vcc_lo, s17, v1, vcc_lo
	s_and_saveexec_b32 s16, s4
	s_cbranch_execz .LBB3_412
; %bb.411:
	v_mov_b32_e32 v4, s5
	v_mov_b32_e32 v6, 2
	v_mov_b32_e32 v7, 1
	global_store_dwordx4 v[8:9], v[4:7], off offset:8
.LBB3_412:
	s_or_b32 exec_lo, exec_lo, s16
	s_lshl_b64 s[14:15], s[14:15], 12
	s_mov_b32 s16, 0
	v_add_co_u32 v2, vcc_lo, v2, s14
	v_add_co_ci_u32_e32 v3, vcc_lo, s15, v3, vcc_lo
	s_mov_b32 s17, s16
	v_add_co_u32 v10, vcc_lo, v2, v36
	s_mov_b32 s18, s16
	s_mov_b32 s19, s16
	v_mov_b32_e32 v4, 33
	v_mov_b32_e32 v6, v5
	;; [unrolled: 1-line block ×3, first 2 shown]
	v_readfirstlane_b32 s14, v2
	v_readfirstlane_b32 s15, v3
	v_mov_b32_e32 v12, s16
	v_add_co_ci_u32_e32 v11, vcc_lo, 0, v3, vcc_lo
	v_mov_b32_e32 v13, s17
	v_mov_b32_e32 v14, s18
	;; [unrolled: 1-line block ×3, first 2 shown]
	global_store_dwordx4 v36, v[4:7], s[14:15]
	global_store_dwordx4 v36, v[12:15], s[14:15] offset:16
	global_store_dwordx4 v36, v[12:15], s[14:15] offset:32
	;; [unrolled: 1-line block ×3, first 2 shown]
	s_and_saveexec_b32 s5, s4
	s_cbranch_execz .LBB3_420
; %bb.413:
	v_mov_b32_e32 v6, 0
	v_mov_b32_e32 v12, s8
	;; [unrolled: 1-line block ×3, first 2 shown]
	s_clause 0x1
	global_load_dwordx2 v[14:15], v6, s[26:27] offset:32 glc dlc
	global_load_dwordx2 v[2:3], v6, s[26:27] offset:40
	s_waitcnt vmcnt(0)
	v_readfirstlane_b32 s14, v2
	v_readfirstlane_b32 s15, v3
	s_and_b64 s[14:15], s[14:15], s[8:9]
	s_mul_i32 s15, s15, 24
	s_mul_hi_u32 s16, s14, 24
	s_mul_i32 s14, s14, 24
	s_add_i32 s16, s16, s15
	v_add_co_u32 v4, vcc_lo, v0, s14
	v_add_co_ci_u32_e32 v5, vcc_lo, s16, v1, vcc_lo
	s_mov_b32 s14, exec_lo
	global_store_dwordx2 v[4:5], v[14:15], off
	s_waitcnt_vscnt null, 0x0
	global_atomic_cmpswap_x2 v[2:3], v6, v[12:15], s[26:27] offset:32 glc
	s_waitcnt vmcnt(0)
	v_cmpx_ne_u64_e64 v[2:3], v[14:15]
	s_cbranch_execz .LBB3_416
; %bb.414:
	s_mov_b32 s15, 0
.LBB3_415:                              ; =>This Inner Loop Header: Depth=1
	v_mov_b32_e32 v0, s8
	v_mov_b32_e32 v1, s9
	s_sleep 1
	global_store_dwordx2 v[4:5], v[2:3], off
	s_waitcnt_vscnt null, 0x0
	global_atomic_cmpswap_x2 v[0:1], v6, v[0:3], s[26:27] offset:32 glc
	s_waitcnt vmcnt(0)
	v_cmp_eq_u64_e32 vcc_lo, v[0:1], v[2:3]
	v_mov_b32_e32 v3, v1
	v_mov_b32_e32 v2, v0
	s_or_b32 s15, vcc_lo, s15
	s_andn2_b32 exec_lo, exec_lo, s15
	s_cbranch_execnz .LBB3_415
.LBB3_416:
	s_or_b32 exec_lo, exec_lo, s14
	v_mov_b32_e32 v3, 0
	s_mov_b32 s15, exec_lo
	s_mov_b32 s14, exec_lo
	v_mbcnt_lo_u32_b32 v2, s15, 0
	global_load_dwordx2 v[0:1], v3, s[26:27] offset:16
	v_cmpx_eq_u32_e32 0, v2
	s_cbranch_execz .LBB3_418
; %bb.417:
	s_bcnt1_i32_b32 s15, s15
	v_mov_b32_e32 v2, s15
	s_waitcnt vmcnt(0)
	global_atomic_add_x2 v[0:1], v[2:3], off offset:8
.LBB3_418:
	s_or_b32 exec_lo, exec_lo, s14
	s_waitcnt vmcnt(0)
	global_load_dwordx2 v[2:3], v[0:1], off offset:16
	s_waitcnt vmcnt(0)
	v_cmp_eq_u64_e32 vcc_lo, 0, v[2:3]
	s_cbranch_vccnz .LBB3_420
; %bb.419:
	global_load_dword v0, v[0:1], off offset:24
	v_mov_b32_e32 v1, 0
	s_waitcnt vmcnt(0)
	v_and_b32_e32 v4, 0x7fffff, v0
	s_waitcnt_vscnt null, 0x0
	global_store_dwordx2 v[2:3], v[0:1], off
	v_readfirstlane_b32 m0, v4
	s_sendmsg sendmsg(MSG_INTERRUPT)
.LBB3_420:
	s_or_b32 exec_lo, exec_lo, s5
	s_branch .LBB3_424
	.p2align	6
.LBB3_421:                              ;   in Loop: Header=BB3_424 Depth=1
	s_or_b32 exec_lo, exec_lo, s5
	v_readfirstlane_b32 s5, v0
	s_cmp_eq_u32 s5, 0
	s_cbranch_scc1 .LBB3_423
; %bb.422:                              ;   in Loop: Header=BB3_424 Depth=1
	s_sleep 1
	s_cbranch_execnz .LBB3_424
	s_branch .LBB3_426
	.p2align	6
.LBB3_423:
	s_branch .LBB3_426
.LBB3_424:                              ; =>This Inner Loop Header: Depth=1
	v_mov_b32_e32 v0, 1
	s_and_saveexec_b32 s5, s4
	s_cbranch_execz .LBB3_421
; %bb.425:                              ;   in Loop: Header=BB3_424 Depth=1
	global_load_dword v0, v[8:9], off offset:20 glc dlc
	s_waitcnt vmcnt(0)
	buffer_gl1_inv
	buffer_gl0_inv
	v_and_b32_e32 v0, 1, v0
	s_branch .LBB3_421
.LBB3_426:
	global_load_dwordx2 v[4:5], v[10:11], off
	s_and_saveexec_b32 s5, s4
	s_cbranch_execz .LBB3_430
; %bb.427:
	v_mov_b32_e32 v8, 0
	s_clause 0x2
	global_load_dwordx2 v[2:3], v8, s[26:27] offset:40
	global_load_dwordx2 v[9:10], v8, s[26:27] offset:24 glc dlc
	global_load_dwordx2 v[6:7], v8, s[26:27]
	s_waitcnt vmcnt(2)
	v_add_co_u32 v11, vcc_lo, v2, 1
	v_add_co_ci_u32_e32 v12, vcc_lo, 0, v3, vcc_lo
	v_add_co_u32 v0, vcc_lo, v11, s8
	v_add_co_ci_u32_e32 v1, vcc_lo, s9, v12, vcc_lo
	v_cmp_eq_u64_e32 vcc_lo, 0, v[0:1]
	v_cndmask_b32_e32 v1, v1, v12, vcc_lo
	v_cndmask_b32_e32 v0, v0, v11, vcc_lo
	v_and_b32_e32 v3, v1, v3
	v_and_b32_e32 v2, v0, v2
	v_mul_lo_u32 v3, v3, 24
	v_mul_hi_u32 v11, v2, 24
	v_mul_lo_u32 v2, v2, 24
	v_add_nc_u32_e32 v3, v11, v3
	s_waitcnt vmcnt(0)
	v_add_co_u32 v6, vcc_lo, v6, v2
	v_mov_b32_e32 v2, v9
	v_add_co_ci_u32_e32 v7, vcc_lo, v7, v3, vcc_lo
	v_mov_b32_e32 v3, v10
	global_store_dwordx2 v[6:7], v[9:10], off
	s_waitcnt_vscnt null, 0x0
	global_atomic_cmpswap_x2 v[2:3], v8, v[0:3], s[26:27] offset:24 glc
	s_waitcnt vmcnt(0)
	v_cmp_ne_u64_e32 vcc_lo, v[2:3], v[9:10]
	s_and_b32 exec_lo, exec_lo, vcc_lo
	s_cbranch_execz .LBB3_430
; %bb.428:
	s_mov_b32 s4, 0
.LBB3_429:                              ; =>This Inner Loop Header: Depth=1
	s_sleep 1
	global_store_dwordx2 v[6:7], v[2:3], off
	s_waitcnt_vscnt null, 0x0
	global_atomic_cmpswap_x2 v[9:10], v8, v[0:3], s[26:27] offset:24 glc
	s_waitcnt vmcnt(0)
	v_cmp_eq_u64_e32 vcc_lo, v[9:10], v[2:3]
	v_mov_b32_e32 v2, v9
	v_mov_b32_e32 v3, v10
	s_or_b32 s4, vcc_lo, s4
	s_andn2_b32 exec_lo, exec_lo, s4
	s_cbranch_execnz .LBB3_429
.LBB3_430:
	s_or_b32 exec_lo, exec_lo, s5
	s_and_b32 vcc_lo, exec_lo, s13
	s_cbranch_vccz .LBB3_509
; %bb.431:
	s_waitcnt vmcnt(0)
	v_and_b32_e32 v28, 2, v4
	v_mov_b32_e32 v7, 0
	v_and_b32_e32 v0, -3, v4
	v_mov_b32_e32 v1, v5
	v_mov_b32_e32 v8, 2
	;; [unrolled: 1-line block ×3, first 2 shown]
	s_mov_b64 s[14:15], 3
	s_getpc_b64 s[8:9]
	s_add_u32 s8, s8, .str.5@rel32@lo+4
	s_addc_u32 s9, s9, .str.5@rel32@hi+12
	s_branch .LBB3_433
.LBB3_432:                              ;   in Loop: Header=BB3_433 Depth=1
	s_or_b32 exec_lo, exec_lo, s5
	s_sub_u32 s14, s14, s16
	s_subb_u32 s15, s15, s17
	s_add_u32 s8, s8, s16
	s_addc_u32 s9, s9, s17
	s_cmp_lg_u64 s[14:15], 0
	s_cbranch_scc0 .LBB3_508
.LBB3_433:                              ; =>This Loop Header: Depth=1
                                        ;     Child Loop BB3_442 Depth 2
                                        ;     Child Loop BB3_438 Depth 2
	;; [unrolled: 1-line block ×11, first 2 shown]
	v_cmp_lt_u64_e64 s4, s[14:15], 56
	v_cmp_gt_u64_e64 s5, s[14:15], 7
                                        ; implicit-def: $vgpr2_vgpr3
                                        ; implicit-def: $sgpr23
	s_and_b32 s4, s4, exec_lo
	s_cselect_b32 s17, s15, 0
	s_cselect_b32 s16, s14, 56
	s_and_b32 vcc_lo, exec_lo, s5
	s_mov_b32 s4, -1
	s_cbranch_vccz .LBB3_440
; %bb.434:                              ;   in Loop: Header=BB3_433 Depth=1
	s_andn2_b32 vcc_lo, exec_lo, s4
	s_mov_b64 s[4:5], s[8:9]
	s_cbranch_vccz .LBB3_444
.LBB3_435:                              ;   in Loop: Header=BB3_433 Depth=1
	s_cmp_gt_u32 s23, 7
	s_cbranch_scc1 .LBB3_445
.LBB3_436:                              ;   in Loop: Header=BB3_433 Depth=1
	v_mov_b32_e32 v10, 0
	v_mov_b32_e32 v11, 0
	s_cmp_eq_u32 s23, 0
	s_cbranch_scc1 .LBB3_439
; %bb.437:                              ;   in Loop: Header=BB3_433 Depth=1
	s_mov_b64 s[18:19], 0
	s_mov_b64 s[20:21], 0
.LBB3_438:                              ;   Parent Loop BB3_433 Depth=1
                                        ; =>  This Inner Loop Header: Depth=2
	s_add_u32 s24, s4, s20
	s_addc_u32 s25, s5, s21
	s_add_u32 s20, s20, 1
	global_load_ubyte v6, v7, s[24:25]
	s_addc_u32 s21, s21, 0
	s_waitcnt vmcnt(0)
	v_and_b32_e32 v6, 0xffff, v6
	v_lshlrev_b64 v[12:13], s18, v[6:7]
	s_add_u32 s18, s18, 8
	s_addc_u32 s19, s19, 0
	s_cmp_lg_u32 s23, s20
	v_or_b32_e32 v10, v12, v10
	v_or_b32_e32 v11, v13, v11
	s_cbranch_scc1 .LBB3_438
.LBB3_439:                              ;   in Loop: Header=BB3_433 Depth=1
	s_mov_b32 s24, 0
	s_cbranch_execz .LBB3_446
	s_branch .LBB3_447
.LBB3_440:                              ;   in Loop: Header=BB3_433 Depth=1
	s_waitcnt vmcnt(0)
	v_mov_b32_e32 v2, 0
	v_mov_b32_e32 v3, 0
	s_cmp_eq_u64 s[14:15], 0
	s_mov_b64 s[4:5], 0
	s_cbranch_scc1 .LBB3_443
; %bb.441:                              ;   in Loop: Header=BB3_433 Depth=1
	v_mov_b32_e32 v2, 0
	v_mov_b32_e32 v3, 0
	s_lshl_b64 s[18:19], s[16:17], 3
	s_mov_b64 s[20:21], s[8:9]
.LBB3_442:                              ;   Parent Loop BB3_433 Depth=1
                                        ; =>  This Inner Loop Header: Depth=2
	global_load_ubyte v6, v7, s[20:21]
	s_waitcnt vmcnt(0)
	v_and_b32_e32 v6, 0xffff, v6
	v_lshlrev_b64 v[10:11], s4, v[6:7]
	s_add_u32 s4, s4, 8
	s_addc_u32 s5, s5, 0
	s_add_u32 s20, s20, 1
	s_addc_u32 s21, s21, 0
	s_cmp_lg_u32 s18, s4
	v_or_b32_e32 v2, v10, v2
	v_or_b32_e32 v3, v11, v3
	s_cbranch_scc1 .LBB3_442
.LBB3_443:                              ;   in Loop: Header=BB3_433 Depth=1
	s_mov_b32 s23, 0
	s_mov_b64 s[4:5], s[8:9]
	s_cbranch_execnz .LBB3_435
.LBB3_444:                              ;   in Loop: Header=BB3_433 Depth=1
	global_load_dwordx2 v[2:3], v7, s[8:9]
	s_add_i32 s23, s16, -8
	s_add_u32 s4, s8, 8
	s_addc_u32 s5, s9, 0
	s_cmp_gt_u32 s23, 7
	s_cbranch_scc0 .LBB3_436
.LBB3_445:                              ;   in Loop: Header=BB3_433 Depth=1
                                        ; implicit-def: $vgpr10_vgpr11
                                        ; implicit-def: $sgpr24
.LBB3_446:                              ;   in Loop: Header=BB3_433 Depth=1
	global_load_dwordx2 v[10:11], v7, s[4:5]
	s_add_i32 s24, s23, -8
	s_add_u32 s4, s4, 8
	s_addc_u32 s5, s5, 0
.LBB3_447:                              ;   in Loop: Header=BB3_433 Depth=1
	s_cmp_gt_u32 s24, 7
	s_cbranch_scc1 .LBB3_452
; %bb.448:                              ;   in Loop: Header=BB3_433 Depth=1
	v_mov_b32_e32 v12, 0
	v_mov_b32_e32 v13, 0
	s_cmp_eq_u32 s24, 0
	s_cbranch_scc1 .LBB3_451
; %bb.449:                              ;   in Loop: Header=BB3_433 Depth=1
	s_mov_b64 s[18:19], 0
	s_mov_b64 s[20:21], 0
.LBB3_450:                              ;   Parent Loop BB3_433 Depth=1
                                        ; =>  This Inner Loop Header: Depth=2
	s_add_u32 s28, s4, s20
	s_addc_u32 s29, s5, s21
	s_add_u32 s20, s20, 1
	global_load_ubyte v6, v7, s[28:29]
	s_addc_u32 s21, s21, 0
	s_waitcnt vmcnt(0)
	v_and_b32_e32 v6, 0xffff, v6
	v_lshlrev_b64 v[14:15], s18, v[6:7]
	s_add_u32 s18, s18, 8
	s_addc_u32 s19, s19, 0
	s_cmp_lg_u32 s24, s20
	v_or_b32_e32 v12, v14, v12
	v_or_b32_e32 v13, v15, v13
	s_cbranch_scc1 .LBB3_450
.LBB3_451:                              ;   in Loop: Header=BB3_433 Depth=1
	s_mov_b32 s23, 0
	s_cbranch_execz .LBB3_453
	s_branch .LBB3_454
.LBB3_452:                              ;   in Loop: Header=BB3_433 Depth=1
                                        ; implicit-def: $sgpr23
.LBB3_453:                              ;   in Loop: Header=BB3_433 Depth=1
	global_load_dwordx2 v[12:13], v7, s[4:5]
	s_add_i32 s23, s24, -8
	s_add_u32 s4, s4, 8
	s_addc_u32 s5, s5, 0
.LBB3_454:                              ;   in Loop: Header=BB3_433 Depth=1
	s_cmp_gt_u32 s23, 7
	s_cbranch_scc1 .LBB3_459
; %bb.455:                              ;   in Loop: Header=BB3_433 Depth=1
	v_mov_b32_e32 v14, 0
	v_mov_b32_e32 v15, 0
	s_cmp_eq_u32 s23, 0
	s_cbranch_scc1 .LBB3_458
; %bb.456:                              ;   in Loop: Header=BB3_433 Depth=1
	s_mov_b64 s[18:19], 0
	s_mov_b64 s[20:21], 0
.LBB3_457:                              ;   Parent Loop BB3_433 Depth=1
                                        ; =>  This Inner Loop Header: Depth=2
	s_add_u32 s24, s4, s20
	s_addc_u32 s25, s5, s21
	s_add_u32 s20, s20, 1
	global_load_ubyte v6, v7, s[24:25]
	s_addc_u32 s21, s21, 0
	s_waitcnt vmcnt(0)
	v_and_b32_e32 v6, 0xffff, v6
	v_lshlrev_b64 v[16:17], s18, v[6:7]
	s_add_u32 s18, s18, 8
	s_addc_u32 s19, s19, 0
	s_cmp_lg_u32 s23, s20
	v_or_b32_e32 v14, v16, v14
	v_or_b32_e32 v15, v17, v15
	s_cbranch_scc1 .LBB3_457
.LBB3_458:                              ;   in Loop: Header=BB3_433 Depth=1
	s_mov_b32 s24, 0
	s_cbranch_execz .LBB3_460
	s_branch .LBB3_461
.LBB3_459:                              ;   in Loop: Header=BB3_433 Depth=1
                                        ; implicit-def: $vgpr14_vgpr15
                                        ; implicit-def: $sgpr24
.LBB3_460:                              ;   in Loop: Header=BB3_433 Depth=1
	global_load_dwordx2 v[14:15], v7, s[4:5]
	s_add_i32 s24, s23, -8
	s_add_u32 s4, s4, 8
	s_addc_u32 s5, s5, 0
.LBB3_461:                              ;   in Loop: Header=BB3_433 Depth=1
	s_cmp_gt_u32 s24, 7
	s_cbranch_scc1 .LBB3_466
; %bb.462:                              ;   in Loop: Header=BB3_433 Depth=1
	v_mov_b32_e32 v16, 0
	v_mov_b32_e32 v17, 0
	s_cmp_eq_u32 s24, 0
	s_cbranch_scc1 .LBB3_465
; %bb.463:                              ;   in Loop: Header=BB3_433 Depth=1
	s_mov_b64 s[18:19], 0
	s_mov_b64 s[20:21], 0
.LBB3_464:                              ;   Parent Loop BB3_433 Depth=1
                                        ; =>  This Inner Loop Header: Depth=2
	s_add_u32 s28, s4, s20
	s_addc_u32 s29, s5, s21
	s_add_u32 s20, s20, 1
	global_load_ubyte v6, v7, s[28:29]
	s_addc_u32 s21, s21, 0
	s_waitcnt vmcnt(0)
	v_and_b32_e32 v6, 0xffff, v6
	v_lshlrev_b64 v[18:19], s18, v[6:7]
	s_add_u32 s18, s18, 8
	s_addc_u32 s19, s19, 0
	s_cmp_lg_u32 s24, s20
	v_or_b32_e32 v16, v18, v16
	v_or_b32_e32 v17, v19, v17
	s_cbranch_scc1 .LBB3_464
.LBB3_465:                              ;   in Loop: Header=BB3_433 Depth=1
	s_mov_b32 s23, 0
	s_cbranch_execz .LBB3_467
	s_branch .LBB3_468
.LBB3_466:                              ;   in Loop: Header=BB3_433 Depth=1
                                        ; implicit-def: $sgpr23
.LBB3_467:                              ;   in Loop: Header=BB3_433 Depth=1
	global_load_dwordx2 v[16:17], v7, s[4:5]
	s_add_i32 s23, s24, -8
	s_add_u32 s4, s4, 8
	s_addc_u32 s5, s5, 0
.LBB3_468:                              ;   in Loop: Header=BB3_433 Depth=1
	s_cmp_gt_u32 s23, 7
	s_cbranch_scc1 .LBB3_473
; %bb.469:                              ;   in Loop: Header=BB3_433 Depth=1
	v_mov_b32_e32 v18, 0
	v_mov_b32_e32 v19, 0
	s_cmp_eq_u32 s23, 0
	s_cbranch_scc1 .LBB3_472
; %bb.470:                              ;   in Loop: Header=BB3_433 Depth=1
	s_mov_b64 s[18:19], 0
	s_mov_b64 s[20:21], 0
.LBB3_471:                              ;   Parent Loop BB3_433 Depth=1
                                        ; =>  This Inner Loop Header: Depth=2
	s_add_u32 s24, s4, s20
	s_addc_u32 s25, s5, s21
	s_add_u32 s20, s20, 1
	global_load_ubyte v6, v7, s[24:25]
	s_addc_u32 s21, s21, 0
	s_waitcnt vmcnt(0)
	v_and_b32_e32 v6, 0xffff, v6
	v_lshlrev_b64 v[20:21], s18, v[6:7]
	s_add_u32 s18, s18, 8
	s_addc_u32 s19, s19, 0
	s_cmp_lg_u32 s23, s20
	v_or_b32_e32 v18, v20, v18
	v_or_b32_e32 v19, v21, v19
	s_cbranch_scc1 .LBB3_471
.LBB3_472:                              ;   in Loop: Header=BB3_433 Depth=1
	s_mov_b32 s24, 0
	s_cbranch_execz .LBB3_474
	s_branch .LBB3_475
.LBB3_473:                              ;   in Loop: Header=BB3_433 Depth=1
                                        ; implicit-def: $vgpr18_vgpr19
                                        ; implicit-def: $sgpr24
.LBB3_474:                              ;   in Loop: Header=BB3_433 Depth=1
	global_load_dwordx2 v[18:19], v7, s[4:5]
	s_add_i32 s24, s23, -8
	s_add_u32 s4, s4, 8
	s_addc_u32 s5, s5, 0
.LBB3_475:                              ;   in Loop: Header=BB3_433 Depth=1
	s_cmp_gt_u32 s24, 7
	s_cbranch_scc1 .LBB3_480
; %bb.476:                              ;   in Loop: Header=BB3_433 Depth=1
	v_mov_b32_e32 v20, 0
	v_mov_b32_e32 v21, 0
	s_cmp_eq_u32 s24, 0
	s_cbranch_scc1 .LBB3_479
; %bb.477:                              ;   in Loop: Header=BB3_433 Depth=1
	s_mov_b64 s[18:19], 0
	s_mov_b64 s[20:21], s[4:5]
.LBB3_478:                              ;   Parent Loop BB3_433 Depth=1
                                        ; =>  This Inner Loop Header: Depth=2
	global_load_ubyte v6, v7, s[20:21]
	s_add_i32 s24, s24, -1
	s_waitcnt vmcnt(0)
	v_and_b32_e32 v6, 0xffff, v6
	v_lshlrev_b64 v[22:23], s18, v[6:7]
	s_add_u32 s18, s18, 8
	s_addc_u32 s19, s19, 0
	s_add_u32 s20, s20, 1
	s_addc_u32 s21, s21, 0
	s_cmp_lg_u32 s24, 0
	v_or_b32_e32 v20, v22, v20
	v_or_b32_e32 v21, v23, v21
	s_cbranch_scc1 .LBB3_478
.LBB3_479:                              ;   in Loop: Header=BB3_433 Depth=1
	s_cbranch_execz .LBB3_481
	s_branch .LBB3_482
.LBB3_480:                              ;   in Loop: Header=BB3_433 Depth=1
.LBB3_481:                              ;   in Loop: Header=BB3_433 Depth=1
	global_load_dwordx2 v[20:21], v7, s[4:5]
.LBB3_482:                              ;   in Loop: Header=BB3_433 Depth=1
	v_readfirstlane_b32 s4, v37
	v_mov_b32_e32 v26, 0
	v_mov_b32_e32 v27, 0
	v_cmp_eq_u32_e64 s4, s4, v37
	s_and_saveexec_b32 s5, s4
	s_cbranch_execz .LBB3_488
; %bb.483:                              ;   in Loop: Header=BB3_433 Depth=1
	global_load_dwordx2 v[24:25], v7, s[26:27] offset:24 glc dlc
	s_waitcnt vmcnt(0)
	buffer_gl1_inv
	buffer_gl0_inv
	s_clause 0x1
	global_load_dwordx2 v[22:23], v7, s[26:27] offset:40
	global_load_dwordx2 v[26:27], v7, s[26:27]
	s_mov_b32 s18, exec_lo
	s_waitcnt vmcnt(1)
	v_and_b32_e32 v6, v23, v25
	v_and_b32_e32 v22, v22, v24
	v_mul_lo_u32 v6, v6, 24
	v_mul_hi_u32 v23, v22, 24
	v_mul_lo_u32 v22, v22, 24
	v_add_nc_u32_e32 v6, v23, v6
	s_waitcnt vmcnt(0)
	v_add_co_u32 v22, vcc_lo, v26, v22
	v_add_co_ci_u32_e32 v23, vcc_lo, v27, v6, vcc_lo
	global_load_dwordx2 v[22:23], v[22:23], off glc dlc
	s_waitcnt vmcnt(0)
	global_atomic_cmpswap_x2 v[26:27], v7, v[22:25], s[26:27] offset:24 glc
	s_waitcnt vmcnt(0)
	buffer_gl1_inv
	buffer_gl0_inv
	v_cmpx_ne_u64_e64 v[26:27], v[24:25]
	s_cbranch_execz .LBB3_487
; %bb.484:                              ;   in Loop: Header=BB3_433 Depth=1
	s_mov_b32 s19, 0
	.p2align	6
.LBB3_485:                              ;   Parent Loop BB3_433 Depth=1
                                        ; =>  This Inner Loop Header: Depth=2
	s_sleep 1
	s_clause 0x1
	global_load_dwordx2 v[22:23], v7, s[26:27] offset:40
	global_load_dwordx2 v[29:30], v7, s[26:27]
	v_mov_b32_e32 v24, v26
	v_mov_b32_e32 v25, v27
	s_waitcnt vmcnt(1)
	v_and_b32_e32 v6, v22, v24
	v_and_b32_e32 v22, v23, v25
	s_waitcnt vmcnt(0)
	v_mad_u64_u32 v[26:27], null, v6, 24, v[29:30]
	v_mov_b32_e32 v6, v27
	v_mad_u64_u32 v[22:23], null, v22, 24, v[6:7]
	v_mov_b32_e32 v27, v22
	global_load_dwordx2 v[22:23], v[26:27], off glc dlc
	s_waitcnt vmcnt(0)
	global_atomic_cmpswap_x2 v[26:27], v7, v[22:25], s[26:27] offset:24 glc
	s_waitcnt vmcnt(0)
	buffer_gl1_inv
	buffer_gl0_inv
	v_cmp_eq_u64_e32 vcc_lo, v[26:27], v[24:25]
	s_or_b32 s19, vcc_lo, s19
	s_andn2_b32 exec_lo, exec_lo, s19
	s_cbranch_execnz .LBB3_485
; %bb.486:                              ;   in Loop: Header=BB3_433 Depth=1
	s_or_b32 exec_lo, exec_lo, s19
.LBB3_487:                              ;   in Loop: Header=BB3_433 Depth=1
	s_or_b32 exec_lo, exec_lo, s18
.LBB3_488:                              ;   in Loop: Header=BB3_433 Depth=1
	s_or_b32 exec_lo, exec_lo, s5
	s_clause 0x1
	global_load_dwordx2 v[29:30], v7, s[26:27] offset:40
	global_load_dwordx4 v[22:25], v7, s[26:27]
	v_readfirstlane_b32 s18, v26
	v_readfirstlane_b32 s19, v27
	s_mov_b32 s5, exec_lo
	s_waitcnt vmcnt(1)
	v_readfirstlane_b32 s20, v29
	v_readfirstlane_b32 s21, v30
	s_and_b64 s[20:21], s[18:19], s[20:21]
	s_mul_i32 s23, s21, 24
	s_mul_hi_u32 s24, s20, 24
	s_mul_i32 s25, s20, 24
	s_add_i32 s24, s24, s23
	s_waitcnt vmcnt(0)
	v_add_co_u32 v26, vcc_lo, v22, s25
	v_add_co_ci_u32_e32 v27, vcc_lo, s24, v23, vcc_lo
	s_and_saveexec_b32 s23, s4
	s_cbranch_execz .LBB3_490
; %bb.489:                              ;   in Loop: Header=BB3_433 Depth=1
	v_mov_b32_e32 v6, s5
	global_store_dwordx4 v[26:27], v[6:9], off offset:8
.LBB3_490:                              ;   in Loop: Header=BB3_433 Depth=1
	s_or_b32 exec_lo, exec_lo, s23
	s_lshl_b64 s[20:21], s[20:21], 12
	v_cmp_gt_u64_e64 vcc_lo, s[14:15], 56
	v_or_b32_e32 v29, v0, v28
	v_add_co_u32 v24, s5, v24, s20
	v_add_co_ci_u32_e64 v25, s5, s21, v25, s5
	s_lshl_b32 s5, s16, 2
	v_or_b32_e32 v6, 0, v1
	v_cndmask_b32_e32 v0, v29, v0, vcc_lo
	s_add_i32 s5, s5, 28
	v_readfirstlane_b32 s20, v24
	s_and_b32 s5, s5, 0x1e0
	v_cndmask_b32_e32 v1, v6, v1, vcc_lo
	v_readfirstlane_b32 s21, v25
	v_and_or_b32 v0, 0xffffff1f, v0, s5
	global_store_dwordx4 v36, v[0:3], s[20:21]
	global_store_dwordx4 v36, v[10:13], s[20:21] offset:16
	global_store_dwordx4 v36, v[14:17], s[20:21] offset:32
	;; [unrolled: 1-line block ×3, first 2 shown]
	s_and_saveexec_b32 s5, s4
	s_cbranch_execz .LBB3_498
; %bb.491:                              ;   in Loop: Header=BB3_433 Depth=1
	s_clause 0x1
	global_load_dwordx2 v[14:15], v7, s[26:27] offset:32 glc dlc
	global_load_dwordx2 v[0:1], v7, s[26:27] offset:40
	v_mov_b32_e32 v12, s18
	v_mov_b32_e32 v13, s19
	s_waitcnt vmcnt(0)
	v_readfirstlane_b32 s20, v0
	v_readfirstlane_b32 s21, v1
	s_and_b64 s[20:21], s[20:21], s[18:19]
	s_mul_i32 s21, s21, 24
	s_mul_hi_u32 s23, s20, 24
	s_mul_i32 s20, s20, 24
	s_add_i32 s23, s23, s21
	v_add_co_u32 v10, vcc_lo, v22, s20
	v_add_co_ci_u32_e32 v11, vcc_lo, s23, v23, vcc_lo
	s_mov_b32 s20, exec_lo
	global_store_dwordx2 v[10:11], v[14:15], off
	s_waitcnt_vscnt null, 0x0
	global_atomic_cmpswap_x2 v[2:3], v7, v[12:15], s[26:27] offset:32 glc
	s_waitcnt vmcnt(0)
	v_cmpx_ne_u64_e64 v[2:3], v[14:15]
	s_cbranch_execz .LBB3_494
; %bb.492:                              ;   in Loop: Header=BB3_433 Depth=1
	s_mov_b32 s21, 0
.LBB3_493:                              ;   Parent Loop BB3_433 Depth=1
                                        ; =>  This Inner Loop Header: Depth=2
	v_mov_b32_e32 v0, s18
	v_mov_b32_e32 v1, s19
	s_sleep 1
	global_store_dwordx2 v[10:11], v[2:3], off
	s_waitcnt_vscnt null, 0x0
	global_atomic_cmpswap_x2 v[0:1], v7, v[0:3], s[26:27] offset:32 glc
	s_waitcnt vmcnt(0)
	v_cmp_eq_u64_e32 vcc_lo, v[0:1], v[2:3]
	v_mov_b32_e32 v3, v1
	v_mov_b32_e32 v2, v0
	s_or_b32 s21, vcc_lo, s21
	s_andn2_b32 exec_lo, exec_lo, s21
	s_cbranch_execnz .LBB3_493
.LBB3_494:                              ;   in Loop: Header=BB3_433 Depth=1
	s_or_b32 exec_lo, exec_lo, s20
	global_load_dwordx2 v[0:1], v7, s[26:27] offset:16
	s_mov_b32 s21, exec_lo
	s_mov_b32 s20, exec_lo
	v_mbcnt_lo_u32_b32 v2, s21, 0
	v_cmpx_eq_u32_e32 0, v2
	s_cbranch_execz .LBB3_496
; %bb.495:                              ;   in Loop: Header=BB3_433 Depth=1
	s_bcnt1_i32_b32 s21, s21
	v_mov_b32_e32 v6, s21
	s_waitcnt vmcnt(0)
	global_atomic_add_x2 v[0:1], v[6:7], off offset:8
.LBB3_496:                              ;   in Loop: Header=BB3_433 Depth=1
	s_or_b32 exec_lo, exec_lo, s20
	s_waitcnt vmcnt(0)
	global_load_dwordx2 v[2:3], v[0:1], off offset:16
	s_waitcnt vmcnt(0)
	v_cmp_eq_u64_e32 vcc_lo, 0, v[2:3]
	s_cbranch_vccnz .LBB3_498
; %bb.497:                              ;   in Loop: Header=BB3_433 Depth=1
	global_load_dword v6, v[0:1], off offset:24
	s_waitcnt vmcnt(0)
	v_and_b32_e32 v0, 0x7fffff, v6
	s_waitcnt_vscnt null, 0x0
	global_store_dwordx2 v[2:3], v[6:7], off
	v_readfirstlane_b32 m0, v0
	s_sendmsg sendmsg(MSG_INTERRUPT)
.LBB3_498:                              ;   in Loop: Header=BB3_433 Depth=1
	s_or_b32 exec_lo, exec_lo, s5
	v_add_co_u32 v0, vcc_lo, v24, v36
	v_add_co_ci_u32_e32 v1, vcc_lo, 0, v25, vcc_lo
	s_branch .LBB3_502
	.p2align	6
.LBB3_499:                              ;   in Loop: Header=BB3_502 Depth=2
	s_or_b32 exec_lo, exec_lo, s5
	v_readfirstlane_b32 s5, v2
	s_cmp_eq_u32 s5, 0
	s_cbranch_scc1 .LBB3_501
; %bb.500:                              ;   in Loop: Header=BB3_502 Depth=2
	s_sleep 1
	s_cbranch_execnz .LBB3_502
	s_branch .LBB3_504
	.p2align	6
.LBB3_501:                              ;   in Loop: Header=BB3_433 Depth=1
	s_branch .LBB3_504
.LBB3_502:                              ;   Parent Loop BB3_433 Depth=1
                                        ; =>  This Inner Loop Header: Depth=2
	v_mov_b32_e32 v2, 1
	s_and_saveexec_b32 s5, s4
	s_cbranch_execz .LBB3_499
; %bb.503:                              ;   in Loop: Header=BB3_502 Depth=2
	global_load_dword v2, v[26:27], off offset:20 glc dlc
	s_waitcnt vmcnt(0)
	buffer_gl1_inv
	buffer_gl0_inv
	v_and_b32_e32 v2, 1, v2
	s_branch .LBB3_499
.LBB3_504:                              ;   in Loop: Header=BB3_433 Depth=1
	global_load_dwordx4 v[0:3], v[0:1], off
	s_and_saveexec_b32 s5, s4
	s_cbranch_execz .LBB3_432
; %bb.505:                              ;   in Loop: Header=BB3_433 Depth=1
	s_clause 0x2
	global_load_dwordx2 v[2:3], v7, s[26:27] offset:40
	global_load_dwordx2 v[14:15], v7, s[26:27] offset:24 glc dlc
	global_load_dwordx2 v[12:13], v7, s[26:27]
	s_waitcnt vmcnt(2)
	v_add_co_u32 v6, vcc_lo, v2, 1
	v_add_co_ci_u32_e32 v16, vcc_lo, 0, v3, vcc_lo
	v_add_co_u32 v10, vcc_lo, v6, s18
	v_add_co_ci_u32_e32 v11, vcc_lo, s19, v16, vcc_lo
	v_cmp_eq_u64_e32 vcc_lo, 0, v[10:11]
	v_cndmask_b32_e32 v11, v11, v16, vcc_lo
	v_cndmask_b32_e32 v10, v10, v6, vcc_lo
	v_and_b32_e32 v3, v11, v3
	v_and_b32_e32 v2, v10, v2
	v_mul_lo_u32 v3, v3, 24
	v_mul_hi_u32 v6, v2, 24
	v_mul_lo_u32 v2, v2, 24
	v_add_nc_u32_e32 v3, v6, v3
	s_waitcnt vmcnt(0)
	v_add_co_u32 v2, vcc_lo, v12, v2
	v_mov_b32_e32 v12, v14
	v_add_co_ci_u32_e32 v3, vcc_lo, v13, v3, vcc_lo
	v_mov_b32_e32 v13, v15
	global_store_dwordx2 v[2:3], v[14:15], off
	s_waitcnt_vscnt null, 0x0
	global_atomic_cmpswap_x2 v[12:13], v7, v[10:13], s[26:27] offset:24 glc
	s_waitcnt vmcnt(0)
	v_cmp_ne_u64_e32 vcc_lo, v[12:13], v[14:15]
	s_and_b32 exec_lo, exec_lo, vcc_lo
	s_cbranch_execz .LBB3_432
; %bb.506:                              ;   in Loop: Header=BB3_433 Depth=1
	s_mov_b32 s4, 0
.LBB3_507:                              ;   Parent Loop BB3_433 Depth=1
                                        ; =>  This Inner Loop Header: Depth=2
	s_sleep 1
	global_store_dwordx2 v[2:3], v[12:13], off
	s_waitcnt_vscnt null, 0x0
	global_atomic_cmpswap_x2 v[14:15], v7, v[10:13], s[26:27] offset:24 glc
	s_waitcnt vmcnt(0)
	v_cmp_eq_u64_e32 vcc_lo, v[14:15], v[12:13]
	v_mov_b32_e32 v12, v14
	v_mov_b32_e32 v13, v15
	s_or_b32 s4, vcc_lo, s4
	s_andn2_b32 exec_lo, exec_lo, s4
	s_cbranch_execnz .LBB3_507
	s_branch .LBB3_432
.LBB3_508:
	s_branch .LBB3_537
.LBB3_509:
                                        ; implicit-def: $vgpr0_vgpr1
	s_cbranch_execz .LBB3_537
; %bb.510:
	v_readfirstlane_b32 s4, v37
	v_mov_b32_e32 v7, 0
	v_mov_b32_e32 v8, 0
	v_cmp_eq_u32_e64 s4, s4, v37
	s_and_saveexec_b32 s5, s4
	s_cbranch_execz .LBB3_516
; %bb.511:
	s_waitcnt vmcnt(0)
	v_mov_b32_e32 v0, 0
	s_mov_b32 s8, exec_lo
	global_load_dwordx2 v[9:10], v0, s[26:27] offset:24 glc dlc
	s_waitcnt vmcnt(0)
	buffer_gl1_inv
	buffer_gl0_inv
	s_clause 0x1
	global_load_dwordx2 v[1:2], v0, s[26:27] offset:40
	global_load_dwordx2 v[6:7], v0, s[26:27]
	s_waitcnt vmcnt(1)
	v_and_b32_e32 v2, v2, v10
	v_and_b32_e32 v1, v1, v9
	v_mul_lo_u32 v2, v2, 24
	v_mul_hi_u32 v3, v1, 24
	v_mul_lo_u32 v1, v1, 24
	v_add_nc_u32_e32 v2, v3, v2
	s_waitcnt vmcnt(0)
	v_add_co_u32 v1, vcc_lo, v6, v1
	v_add_co_ci_u32_e32 v2, vcc_lo, v7, v2, vcc_lo
	global_load_dwordx2 v[7:8], v[1:2], off glc dlc
	s_waitcnt vmcnt(0)
	global_atomic_cmpswap_x2 v[7:8], v0, v[7:10], s[26:27] offset:24 glc
	s_waitcnt vmcnt(0)
	buffer_gl1_inv
	buffer_gl0_inv
	v_cmpx_ne_u64_e64 v[7:8], v[9:10]
	s_cbranch_execz .LBB3_515
; %bb.512:
	s_mov_b32 s9, 0
	.p2align	6
.LBB3_513:                              ; =>This Inner Loop Header: Depth=1
	s_sleep 1
	s_clause 0x1
	global_load_dwordx2 v[1:2], v0, s[26:27] offset:40
	global_load_dwordx2 v[11:12], v0, s[26:27]
	v_mov_b32_e32 v10, v8
	v_mov_b32_e32 v9, v7
	s_waitcnt vmcnt(1)
	v_and_b32_e32 v1, v1, v9
	v_and_b32_e32 v2, v2, v10
	s_waitcnt vmcnt(0)
	v_mad_u64_u32 v[6:7], null, v1, 24, v[11:12]
	v_mov_b32_e32 v1, v7
	v_mad_u64_u32 v[1:2], null, v2, 24, v[1:2]
	v_mov_b32_e32 v7, v1
	global_load_dwordx2 v[7:8], v[6:7], off glc dlc
	s_waitcnt vmcnt(0)
	global_atomic_cmpswap_x2 v[7:8], v0, v[7:10], s[26:27] offset:24 glc
	s_waitcnt vmcnt(0)
	buffer_gl1_inv
	buffer_gl0_inv
	v_cmp_eq_u64_e32 vcc_lo, v[7:8], v[9:10]
	s_or_b32 s9, vcc_lo, s9
	s_andn2_b32 exec_lo, exec_lo, s9
	s_cbranch_execnz .LBB3_513
; %bb.514:
	s_or_b32 exec_lo, exec_lo, s9
.LBB3_515:
	s_or_b32 exec_lo, exec_lo, s8
.LBB3_516:
	s_or_b32 exec_lo, exec_lo, s5
	v_mov_b32_e32 v6, 0
	v_readfirstlane_b32 s8, v7
	v_readfirstlane_b32 s9, v8
	s_mov_b32 s5, exec_lo
	s_clause 0x1
	global_load_dwordx2 v[9:10], v6, s[26:27] offset:40
	global_load_dwordx4 v[0:3], v6, s[26:27]
	s_waitcnt vmcnt(1)
	v_readfirstlane_b32 s14, v9
	v_readfirstlane_b32 s15, v10
	s_and_b64 s[14:15], s[8:9], s[14:15]
	s_mul_i32 s16, s15, 24
	s_mul_hi_u32 s17, s14, 24
	s_mul_i32 s18, s14, 24
	s_add_i32 s17, s17, s16
	s_waitcnt vmcnt(0)
	v_add_co_u32 v8, vcc_lo, v0, s18
	v_add_co_ci_u32_e32 v9, vcc_lo, s17, v1, vcc_lo
	s_and_saveexec_b32 s16, s4
	s_cbranch_execz .LBB3_518
; %bb.517:
	v_mov_b32_e32 v10, s5
	v_mov_b32_e32 v11, v6
	;; [unrolled: 1-line block ×4, first 2 shown]
	global_store_dwordx4 v[8:9], v[10:13], off offset:8
.LBB3_518:
	s_or_b32 exec_lo, exec_lo, s16
	s_lshl_b64 s[14:15], s[14:15], 12
	s_mov_b32 s16, 0
	v_add_co_u32 v2, vcc_lo, v2, s14
	v_add_co_ci_u32_e32 v3, vcc_lo, s15, v3, vcc_lo
	s_mov_b32 s17, s16
	v_add_co_u32 v10, vcc_lo, v2, v36
	s_mov_b32 s18, s16
	s_mov_b32 s19, s16
	v_and_or_b32 v4, 0xffffff1f, v4, 32
	v_mov_b32_e32 v7, v6
	v_readfirstlane_b32 s14, v2
	v_readfirstlane_b32 s15, v3
	v_mov_b32_e32 v12, s16
	v_add_co_ci_u32_e32 v11, vcc_lo, 0, v3, vcc_lo
	v_mov_b32_e32 v13, s17
	v_mov_b32_e32 v14, s18
	;; [unrolled: 1-line block ×3, first 2 shown]
	global_store_dwordx4 v36, v[4:7], s[14:15]
	global_store_dwordx4 v36, v[12:15], s[14:15] offset:16
	global_store_dwordx4 v36, v[12:15], s[14:15] offset:32
	;; [unrolled: 1-line block ×3, first 2 shown]
	s_and_saveexec_b32 s5, s4
	s_cbranch_execz .LBB3_526
; %bb.519:
	v_mov_b32_e32 v6, 0
	v_mov_b32_e32 v12, s8
	;; [unrolled: 1-line block ×3, first 2 shown]
	s_clause 0x1
	global_load_dwordx2 v[14:15], v6, s[26:27] offset:32 glc dlc
	global_load_dwordx2 v[2:3], v6, s[26:27] offset:40
	s_waitcnt vmcnt(0)
	v_readfirstlane_b32 s14, v2
	v_readfirstlane_b32 s15, v3
	s_and_b64 s[14:15], s[14:15], s[8:9]
	s_mul_i32 s15, s15, 24
	s_mul_hi_u32 s16, s14, 24
	s_mul_i32 s14, s14, 24
	s_add_i32 s16, s16, s15
	v_add_co_u32 v4, vcc_lo, v0, s14
	v_add_co_ci_u32_e32 v5, vcc_lo, s16, v1, vcc_lo
	s_mov_b32 s14, exec_lo
	global_store_dwordx2 v[4:5], v[14:15], off
	s_waitcnt_vscnt null, 0x0
	global_atomic_cmpswap_x2 v[2:3], v6, v[12:15], s[26:27] offset:32 glc
	s_waitcnt vmcnt(0)
	v_cmpx_ne_u64_e64 v[2:3], v[14:15]
	s_cbranch_execz .LBB3_522
; %bb.520:
	s_mov_b32 s15, 0
.LBB3_521:                              ; =>This Inner Loop Header: Depth=1
	v_mov_b32_e32 v0, s8
	v_mov_b32_e32 v1, s9
	s_sleep 1
	global_store_dwordx2 v[4:5], v[2:3], off
	s_waitcnt_vscnt null, 0x0
	global_atomic_cmpswap_x2 v[0:1], v6, v[0:3], s[26:27] offset:32 glc
	s_waitcnt vmcnt(0)
	v_cmp_eq_u64_e32 vcc_lo, v[0:1], v[2:3]
	v_mov_b32_e32 v3, v1
	v_mov_b32_e32 v2, v0
	s_or_b32 s15, vcc_lo, s15
	s_andn2_b32 exec_lo, exec_lo, s15
	s_cbranch_execnz .LBB3_521
.LBB3_522:
	s_or_b32 exec_lo, exec_lo, s14
	v_mov_b32_e32 v3, 0
	s_mov_b32 s15, exec_lo
	s_mov_b32 s14, exec_lo
	v_mbcnt_lo_u32_b32 v2, s15, 0
	global_load_dwordx2 v[0:1], v3, s[26:27] offset:16
	v_cmpx_eq_u32_e32 0, v2
	s_cbranch_execz .LBB3_524
; %bb.523:
	s_bcnt1_i32_b32 s15, s15
	v_mov_b32_e32 v2, s15
	s_waitcnt vmcnt(0)
	global_atomic_add_x2 v[0:1], v[2:3], off offset:8
.LBB3_524:
	s_or_b32 exec_lo, exec_lo, s14
	s_waitcnt vmcnt(0)
	global_load_dwordx2 v[2:3], v[0:1], off offset:16
	s_waitcnt vmcnt(0)
	v_cmp_eq_u64_e32 vcc_lo, 0, v[2:3]
	s_cbranch_vccnz .LBB3_526
; %bb.525:
	global_load_dword v0, v[0:1], off offset:24
	v_mov_b32_e32 v1, 0
	s_waitcnt vmcnt(0)
	v_and_b32_e32 v4, 0x7fffff, v0
	s_waitcnt_vscnt null, 0x0
	global_store_dwordx2 v[2:3], v[0:1], off
	v_readfirstlane_b32 m0, v4
	s_sendmsg sendmsg(MSG_INTERRUPT)
.LBB3_526:
	s_or_b32 exec_lo, exec_lo, s5
	s_branch .LBB3_530
	.p2align	6
.LBB3_527:                              ;   in Loop: Header=BB3_530 Depth=1
	s_or_b32 exec_lo, exec_lo, s5
	v_readfirstlane_b32 s5, v0
	s_cmp_eq_u32 s5, 0
	s_cbranch_scc1 .LBB3_529
; %bb.528:                              ;   in Loop: Header=BB3_530 Depth=1
	s_sleep 1
	s_cbranch_execnz .LBB3_530
	s_branch .LBB3_532
	.p2align	6
.LBB3_529:
	s_branch .LBB3_532
.LBB3_530:                              ; =>This Inner Loop Header: Depth=1
	v_mov_b32_e32 v0, 1
	s_and_saveexec_b32 s5, s4
	s_cbranch_execz .LBB3_527
; %bb.531:                              ;   in Loop: Header=BB3_530 Depth=1
	global_load_dword v0, v[8:9], off offset:20 glc dlc
	s_waitcnt vmcnt(0)
	buffer_gl1_inv
	buffer_gl0_inv
	v_and_b32_e32 v0, 1, v0
	s_branch .LBB3_527
.LBB3_532:
	global_load_dwordx2 v[0:1], v[10:11], off
	s_and_saveexec_b32 s5, s4
	s_cbranch_execz .LBB3_536
; %bb.533:
	v_mov_b32_e32 v8, 0
	s_clause 0x2
	global_load_dwordx2 v[4:5], v8, s[26:27] offset:40
	global_load_dwordx2 v[9:10], v8, s[26:27] offset:24 glc dlc
	global_load_dwordx2 v[6:7], v8, s[26:27]
	s_waitcnt vmcnt(2)
	v_add_co_u32 v11, vcc_lo, v4, 1
	v_add_co_ci_u32_e32 v12, vcc_lo, 0, v5, vcc_lo
	v_add_co_u32 v2, vcc_lo, v11, s8
	v_add_co_ci_u32_e32 v3, vcc_lo, s9, v12, vcc_lo
	v_cmp_eq_u64_e32 vcc_lo, 0, v[2:3]
	v_cndmask_b32_e32 v3, v3, v12, vcc_lo
	v_cndmask_b32_e32 v2, v2, v11, vcc_lo
	v_and_b32_e32 v5, v3, v5
	v_and_b32_e32 v4, v2, v4
	v_mul_lo_u32 v5, v5, 24
	v_mul_hi_u32 v11, v4, 24
	v_mul_lo_u32 v4, v4, 24
	v_add_nc_u32_e32 v5, v11, v5
	s_waitcnt vmcnt(0)
	v_add_co_u32 v6, vcc_lo, v6, v4
	v_mov_b32_e32 v4, v9
	v_add_co_ci_u32_e32 v7, vcc_lo, v7, v5, vcc_lo
	v_mov_b32_e32 v5, v10
	global_store_dwordx2 v[6:7], v[9:10], off
	s_waitcnt_vscnt null, 0x0
	global_atomic_cmpswap_x2 v[4:5], v8, v[2:5], s[26:27] offset:24 glc
	s_waitcnt vmcnt(0)
	v_cmp_ne_u64_e32 vcc_lo, v[4:5], v[9:10]
	s_and_b32 exec_lo, exec_lo, vcc_lo
	s_cbranch_execz .LBB3_536
; %bb.534:
	s_mov_b32 s4, 0
.LBB3_535:                              ; =>This Inner Loop Header: Depth=1
	s_sleep 1
	global_store_dwordx2 v[6:7], v[4:5], off
	s_waitcnt_vscnt null, 0x0
	global_atomic_cmpswap_x2 v[9:10], v8, v[2:5], s[26:27] offset:24 glc
	s_waitcnt vmcnt(0)
	v_cmp_eq_u64_e32 vcc_lo, v[9:10], v[4:5]
	v_mov_b32_e32 v4, v9
	v_mov_b32_e32 v5, v10
	s_or_b32 s4, vcc_lo, s4
	s_andn2_b32 exec_lo, exec_lo, s4
	s_cbranch_execnz .LBB3_535
.LBB3_536:
	s_or_b32 exec_lo, exec_lo, s5
.LBB3_537:
	s_getpc_b64 s[8:9]
	s_add_u32 s8, s8, .str.1@rel32@lo+4
	s_addc_u32 s9, s9, .str.1@rel32@hi+12
	s_cmp_lg_u64 s[8:9], 0
	s_cbranch_scc0 .LBB3_616
; %bb.538:
	s_waitcnt vmcnt(0)
	v_and_b32_e32 v6, -3, v0
	v_mov_b32_e32 v7, v1
	v_mov_b32_e32 v3, 0
	v_mov_b32_e32 v4, 2
	v_mov_b32_e32 v5, 1
	s_mov_b64 s[14:15], 0x53
	s_branch .LBB3_540
.LBB3_539:                              ;   in Loop: Header=BB3_540 Depth=1
	s_or_b32 exec_lo, exec_lo, s5
	s_sub_u32 s14, s14, s16
	s_subb_u32 s15, s15, s17
	s_add_u32 s8, s8, s16
	s_addc_u32 s9, s9, s17
	s_cmp_lg_u64 s[14:15], 0
	s_cbranch_scc0 .LBB3_615
.LBB3_540:                              ; =>This Loop Header: Depth=1
                                        ;     Child Loop BB3_549 Depth 2
                                        ;     Child Loop BB3_545 Depth 2
	;; [unrolled: 1-line block ×11, first 2 shown]
	v_cmp_lt_u64_e64 s4, s[14:15], 56
	v_cmp_gt_u64_e64 s5, s[14:15], 7
                                        ; implicit-def: $sgpr23
	s_and_b32 s4, s4, exec_lo
	s_cselect_b32 s17, s15, 0
	s_cselect_b32 s16, s14, 56
	s_and_b32 vcc_lo, exec_lo, s5
	s_mov_b32 s4, -1
	s_cbranch_vccz .LBB3_547
; %bb.541:                              ;   in Loop: Header=BB3_540 Depth=1
	s_andn2_b32 vcc_lo, exec_lo, s4
	s_mov_b64 s[4:5], s[8:9]
	s_cbranch_vccz .LBB3_551
.LBB3_542:                              ;   in Loop: Header=BB3_540 Depth=1
	s_cmp_gt_u32 s23, 7
	s_cbranch_scc1 .LBB3_552
.LBB3_543:                              ;   in Loop: Header=BB3_540 Depth=1
	v_mov_b32_e32 v10, 0
	v_mov_b32_e32 v11, 0
	s_cmp_eq_u32 s23, 0
	s_cbranch_scc1 .LBB3_546
; %bb.544:                              ;   in Loop: Header=BB3_540 Depth=1
	s_mov_b64 s[18:19], 0
	s_mov_b64 s[20:21], 0
.LBB3_545:                              ;   Parent Loop BB3_540 Depth=1
                                        ; =>  This Inner Loop Header: Depth=2
	s_add_u32 s24, s4, s20
	s_addc_u32 s25, s5, s21
	s_add_u32 s20, s20, 1
	global_load_ubyte v2, v3, s[24:25]
	s_addc_u32 s21, s21, 0
	s_waitcnt vmcnt(0)
	v_and_b32_e32 v2, 0xffff, v2
	v_lshlrev_b64 v[12:13], s18, v[2:3]
	s_add_u32 s18, s18, 8
	s_addc_u32 s19, s19, 0
	s_cmp_lg_u32 s23, s20
	v_or_b32_e32 v10, v12, v10
	v_or_b32_e32 v11, v13, v11
	s_cbranch_scc1 .LBB3_545
.LBB3_546:                              ;   in Loop: Header=BB3_540 Depth=1
	s_mov_b32 s24, 0
	s_cbranch_execz .LBB3_553
	s_branch .LBB3_554
.LBB3_547:                              ;   in Loop: Header=BB3_540 Depth=1
	s_waitcnt vmcnt(0)
	v_mov_b32_e32 v8, 0
	v_mov_b32_e32 v9, 0
	s_cmp_eq_u64 s[14:15], 0
	s_mov_b64 s[4:5], 0
	s_cbranch_scc1 .LBB3_550
; %bb.548:                              ;   in Loop: Header=BB3_540 Depth=1
	v_mov_b32_e32 v8, 0
	v_mov_b32_e32 v9, 0
	s_lshl_b64 s[18:19], s[16:17], 3
	s_mov_b64 s[20:21], s[8:9]
.LBB3_549:                              ;   Parent Loop BB3_540 Depth=1
                                        ; =>  This Inner Loop Header: Depth=2
	global_load_ubyte v2, v3, s[20:21]
	s_waitcnt vmcnt(0)
	v_and_b32_e32 v2, 0xffff, v2
	v_lshlrev_b64 v[10:11], s4, v[2:3]
	s_add_u32 s4, s4, 8
	s_addc_u32 s5, s5, 0
	s_add_u32 s20, s20, 1
	s_addc_u32 s21, s21, 0
	s_cmp_lg_u32 s18, s4
	v_or_b32_e32 v8, v10, v8
	v_or_b32_e32 v9, v11, v9
	s_cbranch_scc1 .LBB3_549
.LBB3_550:                              ;   in Loop: Header=BB3_540 Depth=1
	s_mov_b32 s23, 0
	s_mov_b64 s[4:5], s[8:9]
	s_cbranch_execnz .LBB3_542
.LBB3_551:                              ;   in Loop: Header=BB3_540 Depth=1
	global_load_dwordx2 v[8:9], v3, s[8:9]
	s_add_i32 s23, s16, -8
	s_add_u32 s4, s8, 8
	s_addc_u32 s5, s9, 0
	s_cmp_gt_u32 s23, 7
	s_cbranch_scc0 .LBB3_543
.LBB3_552:                              ;   in Loop: Header=BB3_540 Depth=1
                                        ; implicit-def: $vgpr10_vgpr11
                                        ; implicit-def: $sgpr24
.LBB3_553:                              ;   in Loop: Header=BB3_540 Depth=1
	global_load_dwordx2 v[10:11], v3, s[4:5]
	s_add_i32 s24, s23, -8
	s_add_u32 s4, s4, 8
	s_addc_u32 s5, s5, 0
.LBB3_554:                              ;   in Loop: Header=BB3_540 Depth=1
	s_cmp_gt_u32 s24, 7
	s_cbranch_scc1 .LBB3_559
; %bb.555:                              ;   in Loop: Header=BB3_540 Depth=1
	v_mov_b32_e32 v12, 0
	v_mov_b32_e32 v13, 0
	s_cmp_eq_u32 s24, 0
	s_cbranch_scc1 .LBB3_558
; %bb.556:                              ;   in Loop: Header=BB3_540 Depth=1
	s_mov_b64 s[18:19], 0
	s_mov_b64 s[20:21], 0
.LBB3_557:                              ;   Parent Loop BB3_540 Depth=1
                                        ; =>  This Inner Loop Header: Depth=2
	s_add_u32 s28, s4, s20
	s_addc_u32 s29, s5, s21
	s_add_u32 s20, s20, 1
	global_load_ubyte v2, v3, s[28:29]
	s_addc_u32 s21, s21, 0
	s_waitcnt vmcnt(0)
	v_and_b32_e32 v2, 0xffff, v2
	v_lshlrev_b64 v[14:15], s18, v[2:3]
	s_add_u32 s18, s18, 8
	s_addc_u32 s19, s19, 0
	s_cmp_lg_u32 s24, s20
	v_or_b32_e32 v12, v14, v12
	v_or_b32_e32 v13, v15, v13
	s_cbranch_scc1 .LBB3_557
.LBB3_558:                              ;   in Loop: Header=BB3_540 Depth=1
	s_mov_b32 s23, 0
	s_cbranch_execz .LBB3_560
	s_branch .LBB3_561
.LBB3_559:                              ;   in Loop: Header=BB3_540 Depth=1
                                        ; implicit-def: $sgpr23
.LBB3_560:                              ;   in Loop: Header=BB3_540 Depth=1
	global_load_dwordx2 v[12:13], v3, s[4:5]
	s_add_i32 s23, s24, -8
	s_add_u32 s4, s4, 8
	s_addc_u32 s5, s5, 0
.LBB3_561:                              ;   in Loop: Header=BB3_540 Depth=1
	s_cmp_gt_u32 s23, 7
	s_cbranch_scc1 .LBB3_566
; %bb.562:                              ;   in Loop: Header=BB3_540 Depth=1
	v_mov_b32_e32 v14, 0
	v_mov_b32_e32 v15, 0
	s_cmp_eq_u32 s23, 0
	s_cbranch_scc1 .LBB3_565
; %bb.563:                              ;   in Loop: Header=BB3_540 Depth=1
	s_mov_b64 s[18:19], 0
	s_mov_b64 s[20:21], 0
.LBB3_564:                              ;   Parent Loop BB3_540 Depth=1
                                        ; =>  This Inner Loop Header: Depth=2
	s_add_u32 s24, s4, s20
	s_addc_u32 s25, s5, s21
	s_add_u32 s20, s20, 1
	global_load_ubyte v2, v3, s[24:25]
	s_addc_u32 s21, s21, 0
	s_waitcnt vmcnt(0)
	v_and_b32_e32 v2, 0xffff, v2
	v_lshlrev_b64 v[16:17], s18, v[2:3]
	s_add_u32 s18, s18, 8
	s_addc_u32 s19, s19, 0
	s_cmp_lg_u32 s23, s20
	v_or_b32_e32 v14, v16, v14
	v_or_b32_e32 v15, v17, v15
	s_cbranch_scc1 .LBB3_564
.LBB3_565:                              ;   in Loop: Header=BB3_540 Depth=1
	s_mov_b32 s24, 0
	s_cbranch_execz .LBB3_567
	s_branch .LBB3_568
.LBB3_566:                              ;   in Loop: Header=BB3_540 Depth=1
                                        ; implicit-def: $vgpr14_vgpr15
                                        ; implicit-def: $sgpr24
.LBB3_567:                              ;   in Loop: Header=BB3_540 Depth=1
	global_load_dwordx2 v[14:15], v3, s[4:5]
	s_add_i32 s24, s23, -8
	s_add_u32 s4, s4, 8
	s_addc_u32 s5, s5, 0
.LBB3_568:                              ;   in Loop: Header=BB3_540 Depth=1
	s_cmp_gt_u32 s24, 7
	s_cbranch_scc1 .LBB3_573
; %bb.569:                              ;   in Loop: Header=BB3_540 Depth=1
	v_mov_b32_e32 v16, 0
	v_mov_b32_e32 v17, 0
	s_cmp_eq_u32 s24, 0
	s_cbranch_scc1 .LBB3_572
; %bb.570:                              ;   in Loop: Header=BB3_540 Depth=1
	s_mov_b64 s[18:19], 0
	s_mov_b64 s[20:21], 0
.LBB3_571:                              ;   Parent Loop BB3_540 Depth=1
                                        ; =>  This Inner Loop Header: Depth=2
	s_add_u32 s28, s4, s20
	s_addc_u32 s29, s5, s21
	s_add_u32 s20, s20, 1
	global_load_ubyte v2, v3, s[28:29]
	s_addc_u32 s21, s21, 0
	s_waitcnt vmcnt(0)
	v_and_b32_e32 v2, 0xffff, v2
	v_lshlrev_b64 v[18:19], s18, v[2:3]
	s_add_u32 s18, s18, 8
	s_addc_u32 s19, s19, 0
	s_cmp_lg_u32 s24, s20
	v_or_b32_e32 v16, v18, v16
	v_or_b32_e32 v17, v19, v17
	s_cbranch_scc1 .LBB3_571
.LBB3_572:                              ;   in Loop: Header=BB3_540 Depth=1
	s_mov_b32 s23, 0
	s_cbranch_execz .LBB3_574
	s_branch .LBB3_575
.LBB3_573:                              ;   in Loop: Header=BB3_540 Depth=1
                                        ; implicit-def: $sgpr23
.LBB3_574:                              ;   in Loop: Header=BB3_540 Depth=1
	global_load_dwordx2 v[16:17], v3, s[4:5]
	s_add_i32 s23, s24, -8
	s_add_u32 s4, s4, 8
	s_addc_u32 s5, s5, 0
.LBB3_575:                              ;   in Loop: Header=BB3_540 Depth=1
	s_cmp_gt_u32 s23, 7
	s_cbranch_scc1 .LBB3_580
; %bb.576:                              ;   in Loop: Header=BB3_540 Depth=1
	v_mov_b32_e32 v18, 0
	v_mov_b32_e32 v19, 0
	s_cmp_eq_u32 s23, 0
	s_cbranch_scc1 .LBB3_579
; %bb.577:                              ;   in Loop: Header=BB3_540 Depth=1
	s_mov_b64 s[18:19], 0
	s_mov_b64 s[20:21], 0
.LBB3_578:                              ;   Parent Loop BB3_540 Depth=1
                                        ; =>  This Inner Loop Header: Depth=2
	s_add_u32 s24, s4, s20
	s_addc_u32 s25, s5, s21
	s_add_u32 s20, s20, 1
	global_load_ubyte v2, v3, s[24:25]
	s_addc_u32 s21, s21, 0
	s_waitcnt vmcnt(0)
	v_and_b32_e32 v2, 0xffff, v2
	v_lshlrev_b64 v[20:21], s18, v[2:3]
	s_add_u32 s18, s18, 8
	s_addc_u32 s19, s19, 0
	s_cmp_lg_u32 s23, s20
	v_or_b32_e32 v18, v20, v18
	v_or_b32_e32 v19, v21, v19
	s_cbranch_scc1 .LBB3_578
.LBB3_579:                              ;   in Loop: Header=BB3_540 Depth=1
	s_mov_b32 s24, 0
	s_cbranch_execz .LBB3_581
	s_branch .LBB3_582
.LBB3_580:                              ;   in Loop: Header=BB3_540 Depth=1
                                        ; implicit-def: $vgpr18_vgpr19
                                        ; implicit-def: $sgpr24
.LBB3_581:                              ;   in Loop: Header=BB3_540 Depth=1
	global_load_dwordx2 v[18:19], v3, s[4:5]
	s_add_i32 s24, s23, -8
	s_add_u32 s4, s4, 8
	s_addc_u32 s5, s5, 0
.LBB3_582:                              ;   in Loop: Header=BB3_540 Depth=1
	s_cmp_gt_u32 s24, 7
	s_cbranch_scc1 .LBB3_587
; %bb.583:                              ;   in Loop: Header=BB3_540 Depth=1
	v_mov_b32_e32 v20, 0
	v_mov_b32_e32 v21, 0
	s_cmp_eq_u32 s24, 0
	s_cbranch_scc1 .LBB3_586
; %bb.584:                              ;   in Loop: Header=BB3_540 Depth=1
	s_mov_b64 s[18:19], 0
	s_mov_b64 s[20:21], s[4:5]
.LBB3_585:                              ;   Parent Loop BB3_540 Depth=1
                                        ; =>  This Inner Loop Header: Depth=2
	global_load_ubyte v2, v3, s[20:21]
	s_add_i32 s24, s24, -1
	s_waitcnt vmcnt(0)
	v_and_b32_e32 v2, 0xffff, v2
	v_lshlrev_b64 v[22:23], s18, v[2:3]
	s_add_u32 s18, s18, 8
	s_addc_u32 s19, s19, 0
	s_add_u32 s20, s20, 1
	s_addc_u32 s21, s21, 0
	s_cmp_lg_u32 s24, 0
	v_or_b32_e32 v20, v22, v20
	v_or_b32_e32 v21, v23, v21
	s_cbranch_scc1 .LBB3_585
.LBB3_586:                              ;   in Loop: Header=BB3_540 Depth=1
	s_cbranch_execz .LBB3_588
	s_branch .LBB3_589
.LBB3_587:                              ;   in Loop: Header=BB3_540 Depth=1
.LBB3_588:                              ;   in Loop: Header=BB3_540 Depth=1
	global_load_dwordx2 v[20:21], v3, s[4:5]
.LBB3_589:                              ;   in Loop: Header=BB3_540 Depth=1
	v_readfirstlane_b32 s4, v37
	v_mov_b32_e32 v26, 0
	v_mov_b32_e32 v27, 0
	v_cmp_eq_u32_e64 s4, s4, v37
	s_and_saveexec_b32 s5, s4
	s_cbranch_execz .LBB3_595
; %bb.590:                              ;   in Loop: Header=BB3_540 Depth=1
	global_load_dwordx2 v[24:25], v3, s[26:27] offset:24 glc dlc
	s_waitcnt vmcnt(0)
	buffer_gl1_inv
	buffer_gl0_inv
	s_clause 0x1
	global_load_dwordx2 v[22:23], v3, s[26:27] offset:40
	global_load_dwordx2 v[26:27], v3, s[26:27]
	s_mov_b32 s18, exec_lo
	s_waitcnt vmcnt(1)
	v_and_b32_e32 v2, v23, v25
	v_and_b32_e32 v22, v22, v24
	v_mul_lo_u32 v2, v2, 24
	v_mul_hi_u32 v23, v22, 24
	v_mul_lo_u32 v22, v22, 24
	v_add_nc_u32_e32 v2, v23, v2
	s_waitcnt vmcnt(0)
	v_add_co_u32 v22, vcc_lo, v26, v22
	v_add_co_ci_u32_e32 v23, vcc_lo, v27, v2, vcc_lo
	global_load_dwordx2 v[22:23], v[22:23], off glc dlc
	s_waitcnt vmcnt(0)
	global_atomic_cmpswap_x2 v[26:27], v3, v[22:25], s[26:27] offset:24 glc
	s_waitcnt vmcnt(0)
	buffer_gl1_inv
	buffer_gl0_inv
	v_cmpx_ne_u64_e64 v[26:27], v[24:25]
	s_cbranch_execz .LBB3_594
; %bb.591:                              ;   in Loop: Header=BB3_540 Depth=1
	s_mov_b32 s19, 0
	.p2align	6
.LBB3_592:                              ;   Parent Loop BB3_540 Depth=1
                                        ; =>  This Inner Loop Header: Depth=2
	s_sleep 1
	s_clause 0x1
	global_load_dwordx2 v[22:23], v3, s[26:27] offset:40
	global_load_dwordx2 v[28:29], v3, s[26:27]
	v_mov_b32_e32 v24, v26
	v_mov_b32_e32 v25, v27
	s_waitcnt vmcnt(1)
	v_and_b32_e32 v2, v22, v24
	v_and_b32_e32 v22, v23, v25
	s_waitcnt vmcnt(0)
	v_mad_u64_u32 v[26:27], null, v2, 24, v[28:29]
	v_mov_b32_e32 v2, v27
	v_mad_u64_u32 v[22:23], null, v22, 24, v[2:3]
	v_mov_b32_e32 v27, v22
	global_load_dwordx2 v[22:23], v[26:27], off glc dlc
	s_waitcnt vmcnt(0)
	global_atomic_cmpswap_x2 v[26:27], v3, v[22:25], s[26:27] offset:24 glc
	s_waitcnt vmcnt(0)
	buffer_gl1_inv
	buffer_gl0_inv
	v_cmp_eq_u64_e32 vcc_lo, v[26:27], v[24:25]
	s_or_b32 s19, vcc_lo, s19
	s_andn2_b32 exec_lo, exec_lo, s19
	s_cbranch_execnz .LBB3_592
; %bb.593:                              ;   in Loop: Header=BB3_540 Depth=1
	s_or_b32 exec_lo, exec_lo, s19
.LBB3_594:                              ;   in Loop: Header=BB3_540 Depth=1
	s_or_b32 exec_lo, exec_lo, s18
.LBB3_595:                              ;   in Loop: Header=BB3_540 Depth=1
	s_or_b32 exec_lo, exec_lo, s5
	s_clause 0x1
	global_load_dwordx2 v[28:29], v3, s[26:27] offset:40
	global_load_dwordx4 v[22:25], v3, s[26:27]
	v_readfirstlane_b32 s18, v26
	v_readfirstlane_b32 s19, v27
	s_mov_b32 s5, exec_lo
	s_waitcnt vmcnt(1)
	v_readfirstlane_b32 s20, v28
	v_readfirstlane_b32 s21, v29
	s_and_b64 s[20:21], s[18:19], s[20:21]
	s_mul_i32 s23, s21, 24
	s_mul_hi_u32 s24, s20, 24
	s_mul_i32 s25, s20, 24
	s_add_i32 s24, s24, s23
	s_waitcnt vmcnt(0)
	v_add_co_u32 v26, vcc_lo, v22, s25
	v_add_co_ci_u32_e32 v27, vcc_lo, s24, v23, vcc_lo
	s_and_saveexec_b32 s23, s4
	s_cbranch_execz .LBB3_597
; %bb.596:                              ;   in Loop: Header=BB3_540 Depth=1
	v_mov_b32_e32 v2, s5
	global_store_dwordx4 v[26:27], v[2:5], off offset:8
.LBB3_597:                              ;   in Loop: Header=BB3_540 Depth=1
	s_or_b32 exec_lo, exec_lo, s23
	s_lshl_b64 s[20:21], s[20:21], 12
	v_or_b32_e32 v2, 2, v6
	v_add_co_u32 v24, vcc_lo, v24, s20
	v_add_co_ci_u32_e32 v25, vcc_lo, s21, v25, vcc_lo
	v_cmp_gt_u64_e64 vcc_lo, s[14:15], 56
	s_lshl_b32 s5, s16, 2
	v_readfirstlane_b32 s20, v24
	s_add_i32 s5, s5, 28
	v_readfirstlane_b32 s21, v25
	s_and_b32 s5, s5, 0x1e0
	v_cndmask_b32_e32 v2, v2, v6, vcc_lo
	v_and_or_b32 v6, 0xffffff1f, v2, s5
	global_store_dwordx4 v36, v[10:13], s[20:21] offset:16
	global_store_dwordx4 v36, v[6:9], s[20:21]
	global_store_dwordx4 v36, v[14:17], s[20:21] offset:32
	global_store_dwordx4 v36, v[18:21], s[20:21] offset:48
	s_and_saveexec_b32 s5, s4
	s_cbranch_execz .LBB3_605
; %bb.598:                              ;   in Loop: Header=BB3_540 Depth=1
	s_clause 0x1
	global_load_dwordx2 v[14:15], v3, s[26:27] offset:32 glc dlc
	global_load_dwordx2 v[6:7], v3, s[26:27] offset:40
	v_mov_b32_e32 v12, s18
	v_mov_b32_e32 v13, s19
	s_waitcnt vmcnt(0)
	v_readfirstlane_b32 s20, v6
	v_readfirstlane_b32 s21, v7
	s_and_b64 s[20:21], s[20:21], s[18:19]
	s_mul_i32 s21, s21, 24
	s_mul_hi_u32 s23, s20, 24
	s_mul_i32 s20, s20, 24
	s_add_i32 s23, s23, s21
	v_add_co_u32 v10, vcc_lo, v22, s20
	v_add_co_ci_u32_e32 v11, vcc_lo, s23, v23, vcc_lo
	s_mov_b32 s20, exec_lo
	global_store_dwordx2 v[10:11], v[14:15], off
	s_waitcnt_vscnt null, 0x0
	global_atomic_cmpswap_x2 v[8:9], v3, v[12:15], s[26:27] offset:32 glc
	s_waitcnt vmcnt(0)
	v_cmpx_ne_u64_e64 v[8:9], v[14:15]
	s_cbranch_execz .LBB3_601
; %bb.599:                              ;   in Loop: Header=BB3_540 Depth=1
	s_mov_b32 s21, 0
.LBB3_600:                              ;   Parent Loop BB3_540 Depth=1
                                        ; =>  This Inner Loop Header: Depth=2
	v_mov_b32_e32 v6, s18
	v_mov_b32_e32 v7, s19
	s_sleep 1
	global_store_dwordx2 v[10:11], v[8:9], off
	s_waitcnt_vscnt null, 0x0
	global_atomic_cmpswap_x2 v[6:7], v3, v[6:9], s[26:27] offset:32 glc
	s_waitcnt vmcnt(0)
	v_cmp_eq_u64_e32 vcc_lo, v[6:7], v[8:9]
	v_mov_b32_e32 v9, v7
	v_mov_b32_e32 v8, v6
	s_or_b32 s21, vcc_lo, s21
	s_andn2_b32 exec_lo, exec_lo, s21
	s_cbranch_execnz .LBB3_600
.LBB3_601:                              ;   in Loop: Header=BB3_540 Depth=1
	s_or_b32 exec_lo, exec_lo, s20
	global_load_dwordx2 v[6:7], v3, s[26:27] offset:16
	s_mov_b32 s21, exec_lo
	s_mov_b32 s20, exec_lo
	v_mbcnt_lo_u32_b32 v2, s21, 0
	v_cmpx_eq_u32_e32 0, v2
	s_cbranch_execz .LBB3_603
; %bb.602:                              ;   in Loop: Header=BB3_540 Depth=1
	s_bcnt1_i32_b32 s21, s21
	v_mov_b32_e32 v2, s21
	s_waitcnt vmcnt(0)
	global_atomic_add_x2 v[6:7], v[2:3], off offset:8
.LBB3_603:                              ;   in Loop: Header=BB3_540 Depth=1
	s_or_b32 exec_lo, exec_lo, s20
	s_waitcnt vmcnt(0)
	global_load_dwordx2 v[8:9], v[6:7], off offset:16
	s_waitcnt vmcnt(0)
	v_cmp_eq_u64_e32 vcc_lo, 0, v[8:9]
	s_cbranch_vccnz .LBB3_605
; %bb.604:                              ;   in Loop: Header=BB3_540 Depth=1
	global_load_dword v2, v[6:7], off offset:24
	s_waitcnt vmcnt(0)
	v_and_b32_e32 v6, 0x7fffff, v2
	s_waitcnt_vscnt null, 0x0
	global_store_dwordx2 v[8:9], v[2:3], off
	v_readfirstlane_b32 m0, v6
	s_sendmsg sendmsg(MSG_INTERRUPT)
.LBB3_605:                              ;   in Loop: Header=BB3_540 Depth=1
	s_or_b32 exec_lo, exec_lo, s5
	v_add_co_u32 v6, vcc_lo, v24, v36
	v_add_co_ci_u32_e32 v7, vcc_lo, 0, v25, vcc_lo
	s_branch .LBB3_609
	.p2align	6
.LBB3_606:                              ;   in Loop: Header=BB3_609 Depth=2
	s_or_b32 exec_lo, exec_lo, s5
	v_readfirstlane_b32 s5, v2
	s_cmp_eq_u32 s5, 0
	s_cbranch_scc1 .LBB3_608
; %bb.607:                              ;   in Loop: Header=BB3_609 Depth=2
	s_sleep 1
	s_cbranch_execnz .LBB3_609
	s_branch .LBB3_611
	.p2align	6
.LBB3_608:                              ;   in Loop: Header=BB3_540 Depth=1
	s_branch .LBB3_611
.LBB3_609:                              ;   Parent Loop BB3_540 Depth=1
                                        ; =>  This Inner Loop Header: Depth=2
	v_mov_b32_e32 v2, 1
	s_and_saveexec_b32 s5, s4
	s_cbranch_execz .LBB3_606
; %bb.610:                              ;   in Loop: Header=BB3_609 Depth=2
	global_load_dword v2, v[26:27], off offset:20 glc dlc
	s_waitcnt vmcnt(0)
	buffer_gl1_inv
	buffer_gl0_inv
	v_and_b32_e32 v2, 1, v2
	s_branch .LBB3_606
.LBB3_611:                              ;   in Loop: Header=BB3_540 Depth=1
	global_load_dwordx4 v[6:9], v[6:7], off
	s_and_saveexec_b32 s5, s4
	s_cbranch_execz .LBB3_539
; %bb.612:                              ;   in Loop: Header=BB3_540 Depth=1
	s_clause 0x2
	global_load_dwordx2 v[10:11], v3, s[26:27] offset:40
	global_load_dwordx2 v[14:15], v3, s[26:27] offset:24 glc dlc
	global_load_dwordx2 v[12:13], v3, s[26:27]
	s_waitcnt vmcnt(2)
	v_add_co_u32 v2, vcc_lo, v10, 1
	v_add_co_ci_u32_e32 v16, vcc_lo, 0, v11, vcc_lo
	v_add_co_u32 v8, vcc_lo, v2, s18
	v_add_co_ci_u32_e32 v9, vcc_lo, s19, v16, vcc_lo
	v_cmp_eq_u64_e32 vcc_lo, 0, v[8:9]
	v_cndmask_b32_e32 v9, v9, v16, vcc_lo
	v_cndmask_b32_e32 v8, v8, v2, vcc_lo
	v_and_b32_e32 v2, v9, v11
	v_and_b32_e32 v10, v8, v10
	v_mul_lo_u32 v2, v2, 24
	v_mul_hi_u32 v11, v10, 24
	v_mul_lo_u32 v10, v10, 24
	v_add_nc_u32_e32 v2, v11, v2
	s_waitcnt vmcnt(0)
	v_add_co_u32 v12, vcc_lo, v12, v10
	v_mov_b32_e32 v10, v14
	v_mov_b32_e32 v11, v15
	v_add_co_ci_u32_e32 v13, vcc_lo, v13, v2, vcc_lo
	global_store_dwordx2 v[12:13], v[14:15], off
	s_waitcnt_vscnt null, 0x0
	global_atomic_cmpswap_x2 v[10:11], v3, v[8:11], s[26:27] offset:24 glc
	s_waitcnt vmcnt(0)
	v_cmp_ne_u64_e32 vcc_lo, v[10:11], v[14:15]
	s_and_b32 exec_lo, exec_lo, vcc_lo
	s_cbranch_execz .LBB3_539
; %bb.613:                              ;   in Loop: Header=BB3_540 Depth=1
	s_mov_b32 s4, 0
.LBB3_614:                              ;   Parent Loop BB3_540 Depth=1
                                        ; =>  This Inner Loop Header: Depth=2
	s_sleep 1
	global_store_dwordx2 v[12:13], v[10:11], off
	s_waitcnt_vscnt null, 0x0
	global_atomic_cmpswap_x2 v[14:15], v3, v[8:11], s[26:27] offset:24 glc
	s_waitcnt vmcnt(0)
	v_cmp_eq_u64_e32 vcc_lo, v[14:15], v[10:11]
	v_mov_b32_e32 v10, v14
	v_mov_b32_e32 v11, v15
	s_or_b32 s4, vcc_lo, s4
	s_andn2_b32 exec_lo, exec_lo, s4
	s_cbranch_execnz .LBB3_614
	s_branch .LBB3_539
.LBB3_615:
	s_branch .LBB3_644
.LBB3_616:
	s_cbranch_execz .LBB3_644
; %bb.617:
	v_readfirstlane_b32 s4, v37
	s_waitcnt vmcnt(0)
	v_mov_b32_e32 v8, 0
	v_mov_b32_e32 v9, 0
	v_cmp_eq_u32_e64 s4, s4, v37
	s_and_saveexec_b32 s5, s4
	s_cbranch_execz .LBB3_623
; %bb.618:
	v_mov_b32_e32 v2, 0
	s_mov_b32 s8, exec_lo
	global_load_dwordx2 v[5:6], v2, s[26:27] offset:24 glc dlc
	s_waitcnt vmcnt(0)
	buffer_gl1_inv
	buffer_gl0_inv
	s_clause 0x1
	global_load_dwordx2 v[3:4], v2, s[26:27] offset:40
	global_load_dwordx2 v[7:8], v2, s[26:27]
	s_waitcnt vmcnt(1)
	v_and_b32_e32 v4, v4, v6
	v_and_b32_e32 v3, v3, v5
	v_mul_lo_u32 v4, v4, 24
	v_mul_hi_u32 v9, v3, 24
	v_mul_lo_u32 v3, v3, 24
	v_add_nc_u32_e32 v4, v9, v4
	s_waitcnt vmcnt(0)
	v_add_co_u32 v3, vcc_lo, v7, v3
	v_add_co_ci_u32_e32 v4, vcc_lo, v8, v4, vcc_lo
	global_load_dwordx2 v[3:4], v[3:4], off glc dlc
	s_waitcnt vmcnt(0)
	global_atomic_cmpswap_x2 v[8:9], v2, v[3:6], s[26:27] offset:24 glc
	s_waitcnt vmcnt(0)
	buffer_gl1_inv
	buffer_gl0_inv
	v_cmpx_ne_u64_e64 v[8:9], v[5:6]
	s_cbranch_execz .LBB3_622
; %bb.619:
	s_mov_b32 s9, 0
	.p2align	6
.LBB3_620:                              ; =>This Inner Loop Header: Depth=1
	s_sleep 1
	s_clause 0x1
	global_load_dwordx2 v[3:4], v2, s[26:27] offset:40
	global_load_dwordx2 v[10:11], v2, s[26:27]
	v_mov_b32_e32 v5, v8
	v_mov_b32_e32 v6, v9
	s_waitcnt vmcnt(1)
	v_and_b32_e32 v3, v3, v5
	v_and_b32_e32 v4, v4, v6
	s_waitcnt vmcnt(0)
	v_mad_u64_u32 v[7:8], null, v3, 24, v[10:11]
	v_mov_b32_e32 v3, v8
	v_mad_u64_u32 v[3:4], null, v4, 24, v[3:4]
	v_mov_b32_e32 v8, v3
	global_load_dwordx2 v[3:4], v[7:8], off glc dlc
	s_waitcnt vmcnt(0)
	global_atomic_cmpswap_x2 v[8:9], v2, v[3:6], s[26:27] offset:24 glc
	s_waitcnt vmcnt(0)
	buffer_gl1_inv
	buffer_gl0_inv
	v_cmp_eq_u64_e32 vcc_lo, v[8:9], v[5:6]
	s_or_b32 s9, vcc_lo, s9
	s_andn2_b32 exec_lo, exec_lo, s9
	s_cbranch_execnz .LBB3_620
; %bb.621:
	s_or_b32 exec_lo, exec_lo, s9
.LBB3_622:
	s_or_b32 exec_lo, exec_lo, s8
.LBB3_623:
	s_or_b32 exec_lo, exec_lo, s5
	v_mov_b32_e32 v2, 0
	v_readfirstlane_b32 s8, v8
	v_readfirstlane_b32 s9, v9
	s_mov_b32 s5, exec_lo
	s_clause 0x1
	global_load_dwordx2 v[10:11], v2, s[26:27] offset:40
	global_load_dwordx4 v[4:7], v2, s[26:27]
	s_waitcnt vmcnt(1)
	v_readfirstlane_b32 s14, v10
	v_readfirstlane_b32 s15, v11
	s_and_b64 s[14:15], s[8:9], s[14:15]
	s_mul_i32 s16, s15, 24
	s_mul_hi_u32 s17, s14, 24
	s_mul_i32 s18, s14, 24
	s_add_i32 s17, s17, s16
	s_waitcnt vmcnt(0)
	v_add_co_u32 v8, vcc_lo, v4, s18
	v_add_co_ci_u32_e32 v9, vcc_lo, s17, v5, vcc_lo
	s_and_saveexec_b32 s16, s4
	s_cbranch_execz .LBB3_625
; %bb.624:
	v_mov_b32_e32 v10, s5
	v_mov_b32_e32 v11, v2
	;; [unrolled: 1-line block ×4, first 2 shown]
	global_store_dwordx4 v[8:9], v[10:13], off offset:8
.LBB3_625:
	s_or_b32 exec_lo, exec_lo, s16
	s_lshl_b64 s[14:15], s[14:15], 12
	s_mov_b32 s16, 0
	v_add_co_u32 v6, vcc_lo, v6, s14
	v_add_co_ci_u32_e32 v7, vcc_lo, s15, v7, vcc_lo
	s_mov_b32 s17, s16
	s_mov_b32 s18, s16
	;; [unrolled: 1-line block ×3, first 2 shown]
	v_and_or_b32 v0, 0xffffff1d, v0, 34
	v_mov_b32_e32 v3, v2
	v_readfirstlane_b32 s14, v6
	v_readfirstlane_b32 s15, v7
	v_mov_b32_e32 v10, s16
	v_mov_b32_e32 v11, s17
	;; [unrolled: 1-line block ×4, first 2 shown]
	global_store_dwordx4 v36, v[0:3], s[14:15]
	global_store_dwordx4 v36, v[10:13], s[14:15] offset:16
	global_store_dwordx4 v36, v[10:13], s[14:15] offset:32
	;; [unrolled: 1-line block ×3, first 2 shown]
	s_and_saveexec_b32 s5, s4
	s_cbranch_execz .LBB3_633
; %bb.626:
	v_mov_b32_e32 v6, 0
	v_mov_b32_e32 v10, s8
	;; [unrolled: 1-line block ×3, first 2 shown]
	s_clause 0x1
	global_load_dwordx2 v[12:13], v6, s[26:27] offset:32 glc dlc
	global_load_dwordx2 v[0:1], v6, s[26:27] offset:40
	s_waitcnt vmcnt(0)
	v_readfirstlane_b32 s14, v0
	v_readfirstlane_b32 s15, v1
	s_and_b64 s[14:15], s[14:15], s[8:9]
	s_mul_i32 s15, s15, 24
	s_mul_hi_u32 s16, s14, 24
	s_mul_i32 s14, s14, 24
	s_add_i32 s16, s16, s15
	v_add_co_u32 v4, vcc_lo, v4, s14
	v_add_co_ci_u32_e32 v5, vcc_lo, s16, v5, vcc_lo
	s_mov_b32 s14, exec_lo
	global_store_dwordx2 v[4:5], v[12:13], off
	s_waitcnt_vscnt null, 0x0
	global_atomic_cmpswap_x2 v[2:3], v6, v[10:13], s[26:27] offset:32 glc
	s_waitcnt vmcnt(0)
	v_cmpx_ne_u64_e64 v[2:3], v[12:13]
	s_cbranch_execz .LBB3_629
; %bb.627:
	s_mov_b32 s15, 0
.LBB3_628:                              ; =>This Inner Loop Header: Depth=1
	v_mov_b32_e32 v0, s8
	v_mov_b32_e32 v1, s9
	s_sleep 1
	global_store_dwordx2 v[4:5], v[2:3], off
	s_waitcnt_vscnt null, 0x0
	global_atomic_cmpswap_x2 v[0:1], v6, v[0:3], s[26:27] offset:32 glc
	s_waitcnt vmcnt(0)
	v_cmp_eq_u64_e32 vcc_lo, v[0:1], v[2:3]
	v_mov_b32_e32 v3, v1
	v_mov_b32_e32 v2, v0
	s_or_b32 s15, vcc_lo, s15
	s_andn2_b32 exec_lo, exec_lo, s15
	s_cbranch_execnz .LBB3_628
.LBB3_629:
	s_or_b32 exec_lo, exec_lo, s14
	v_mov_b32_e32 v3, 0
	s_mov_b32 s15, exec_lo
	s_mov_b32 s14, exec_lo
	v_mbcnt_lo_u32_b32 v2, s15, 0
	global_load_dwordx2 v[0:1], v3, s[26:27] offset:16
	v_cmpx_eq_u32_e32 0, v2
	s_cbranch_execz .LBB3_631
; %bb.630:
	s_bcnt1_i32_b32 s15, s15
	v_mov_b32_e32 v2, s15
	s_waitcnt vmcnt(0)
	global_atomic_add_x2 v[0:1], v[2:3], off offset:8
.LBB3_631:
	s_or_b32 exec_lo, exec_lo, s14
	s_waitcnt vmcnt(0)
	global_load_dwordx2 v[2:3], v[0:1], off offset:16
	s_waitcnt vmcnt(0)
	v_cmp_eq_u64_e32 vcc_lo, 0, v[2:3]
	s_cbranch_vccnz .LBB3_633
; %bb.632:
	global_load_dword v0, v[0:1], off offset:24
	v_mov_b32_e32 v1, 0
	s_waitcnt vmcnt(0)
	v_and_b32_e32 v4, 0x7fffff, v0
	s_waitcnt_vscnt null, 0x0
	global_store_dwordx2 v[2:3], v[0:1], off
	v_readfirstlane_b32 m0, v4
	s_sendmsg sendmsg(MSG_INTERRUPT)
.LBB3_633:
	s_or_b32 exec_lo, exec_lo, s5
	s_branch .LBB3_637
	.p2align	6
.LBB3_634:                              ;   in Loop: Header=BB3_637 Depth=1
	s_or_b32 exec_lo, exec_lo, s5
	v_readfirstlane_b32 s5, v0
	s_cmp_eq_u32 s5, 0
	s_cbranch_scc1 .LBB3_636
; %bb.635:                              ;   in Loop: Header=BB3_637 Depth=1
	s_sleep 1
	s_cbranch_execnz .LBB3_637
	s_branch .LBB3_639
	.p2align	6
.LBB3_636:
	s_branch .LBB3_639
.LBB3_637:                              ; =>This Inner Loop Header: Depth=1
	v_mov_b32_e32 v0, 1
	s_and_saveexec_b32 s5, s4
	s_cbranch_execz .LBB3_634
; %bb.638:                              ;   in Loop: Header=BB3_637 Depth=1
	global_load_dword v0, v[8:9], off offset:20 glc dlc
	s_waitcnt vmcnt(0)
	buffer_gl1_inv
	buffer_gl0_inv
	v_and_b32_e32 v0, 1, v0
	s_branch .LBB3_634
.LBB3_639:
	s_and_saveexec_b32 s5, s4
	s_cbranch_execz .LBB3_643
; %bb.640:
	v_mov_b32_e32 v6, 0
	s_clause 0x2
	global_load_dwordx2 v[2:3], v6, s[26:27] offset:40
	global_load_dwordx2 v[7:8], v6, s[26:27] offset:24 glc dlc
	global_load_dwordx2 v[4:5], v6, s[26:27]
	s_waitcnt vmcnt(2)
	v_add_co_u32 v9, vcc_lo, v2, 1
	v_add_co_ci_u32_e32 v10, vcc_lo, 0, v3, vcc_lo
	v_add_co_u32 v0, vcc_lo, v9, s8
	v_add_co_ci_u32_e32 v1, vcc_lo, s9, v10, vcc_lo
	v_cmp_eq_u64_e32 vcc_lo, 0, v[0:1]
	v_cndmask_b32_e32 v1, v1, v10, vcc_lo
	v_cndmask_b32_e32 v0, v0, v9, vcc_lo
	v_and_b32_e32 v3, v1, v3
	v_and_b32_e32 v2, v0, v2
	v_mul_lo_u32 v3, v3, 24
	v_mul_hi_u32 v9, v2, 24
	v_mul_lo_u32 v2, v2, 24
	v_add_nc_u32_e32 v3, v9, v3
	s_waitcnt vmcnt(0)
	v_add_co_u32 v4, vcc_lo, v4, v2
	v_mov_b32_e32 v2, v7
	v_add_co_ci_u32_e32 v5, vcc_lo, v5, v3, vcc_lo
	v_mov_b32_e32 v3, v8
	global_store_dwordx2 v[4:5], v[7:8], off
	s_waitcnt_vscnt null, 0x0
	global_atomic_cmpswap_x2 v[2:3], v6, v[0:3], s[26:27] offset:24 glc
	s_waitcnt vmcnt(0)
	v_cmp_ne_u64_e32 vcc_lo, v[2:3], v[7:8]
	s_and_b32 exec_lo, exec_lo, vcc_lo
	s_cbranch_execz .LBB3_643
; %bb.641:
	s_mov_b32 s4, 0
.LBB3_642:                              ; =>This Inner Loop Header: Depth=1
	s_sleep 1
	global_store_dwordx2 v[4:5], v[2:3], off
	s_waitcnt_vscnt null, 0x0
	global_atomic_cmpswap_x2 v[7:8], v6, v[0:3], s[26:27] offset:24 glc
	s_waitcnt vmcnt(0)
	v_cmp_eq_u64_e32 vcc_lo, v[7:8], v[2:3]
	v_mov_b32_e32 v2, v7
	v_mov_b32_e32 v3, v8
	s_or_b32 s4, vcc_lo, s4
	s_andn2_b32 exec_lo, exec_lo, s4
	s_cbranch_execnz .LBB3_642
.LBB3_643:
	s_or_b32 exec_lo, exec_lo, s5
.LBB3_644:
	v_readfirstlane_b32 s4, v37
	s_waitcnt vmcnt(0)
	v_mov_b32_e32 v6, 0
	v_mov_b32_e32 v7, 0
	v_cmp_eq_u32_e64 s4, s4, v37
	s_and_saveexec_b32 s5, s4
	s_cbranch_execz .LBB3_650
; %bb.645:
	v_mov_b32_e32 v0, 0
	s_mov_b32 s8, exec_lo
	global_load_dwordx2 v[3:4], v0, s[26:27] offset:24 glc dlc
	s_waitcnt vmcnt(0)
	buffer_gl1_inv
	buffer_gl0_inv
	s_clause 0x1
	global_load_dwordx2 v[1:2], v0, s[26:27] offset:40
	global_load_dwordx2 v[5:6], v0, s[26:27]
	s_waitcnt vmcnt(1)
	v_and_b32_e32 v2, v2, v4
	v_and_b32_e32 v1, v1, v3
	v_mul_lo_u32 v2, v2, 24
	v_mul_hi_u32 v7, v1, 24
	v_mul_lo_u32 v1, v1, 24
	v_add_nc_u32_e32 v2, v7, v2
	s_waitcnt vmcnt(0)
	v_add_co_u32 v1, vcc_lo, v5, v1
	v_add_co_ci_u32_e32 v2, vcc_lo, v6, v2, vcc_lo
	global_load_dwordx2 v[1:2], v[1:2], off glc dlc
	s_waitcnt vmcnt(0)
	global_atomic_cmpswap_x2 v[6:7], v0, v[1:4], s[26:27] offset:24 glc
	s_waitcnt vmcnt(0)
	buffer_gl1_inv
	buffer_gl0_inv
	v_cmpx_ne_u64_e64 v[6:7], v[3:4]
	s_cbranch_execz .LBB3_649
; %bb.646:
	s_mov_b32 s9, 0
	.p2align	6
.LBB3_647:                              ; =>This Inner Loop Header: Depth=1
	s_sleep 1
	s_clause 0x1
	global_load_dwordx2 v[1:2], v0, s[26:27] offset:40
	global_load_dwordx2 v[8:9], v0, s[26:27]
	v_mov_b32_e32 v3, v6
	v_mov_b32_e32 v4, v7
	s_waitcnt vmcnt(1)
	v_and_b32_e32 v1, v1, v3
	v_and_b32_e32 v2, v2, v4
	s_waitcnt vmcnt(0)
	v_mad_u64_u32 v[5:6], null, v1, 24, v[8:9]
	v_mov_b32_e32 v1, v6
	v_mad_u64_u32 v[1:2], null, v2, 24, v[1:2]
	v_mov_b32_e32 v6, v1
	global_load_dwordx2 v[1:2], v[5:6], off glc dlc
	s_waitcnt vmcnt(0)
	global_atomic_cmpswap_x2 v[6:7], v0, v[1:4], s[26:27] offset:24 glc
	s_waitcnt vmcnt(0)
	buffer_gl1_inv
	buffer_gl0_inv
	v_cmp_eq_u64_e32 vcc_lo, v[6:7], v[3:4]
	s_or_b32 s9, vcc_lo, s9
	s_andn2_b32 exec_lo, exec_lo, s9
	s_cbranch_execnz .LBB3_647
; %bb.648:
	s_or_b32 exec_lo, exec_lo, s9
.LBB3_649:
	s_or_b32 exec_lo, exec_lo, s8
.LBB3_650:
	s_or_b32 exec_lo, exec_lo, s5
	v_mov_b32_e32 v5, 0
	v_readfirstlane_b32 s8, v6
	v_readfirstlane_b32 s9, v7
	s_mov_b32 s5, exec_lo
	s_clause 0x1
	global_load_dwordx2 v[8:9], v5, s[26:27] offset:40
	global_load_dwordx4 v[0:3], v5, s[26:27]
	s_waitcnt vmcnt(1)
	v_readfirstlane_b32 s14, v8
	v_readfirstlane_b32 s15, v9
	s_and_b64 s[14:15], s[8:9], s[14:15]
	s_mul_i32 s16, s15, 24
	s_mul_hi_u32 s17, s14, 24
	s_mul_i32 s18, s14, 24
	s_add_i32 s17, s17, s16
	s_waitcnt vmcnt(0)
	v_add_co_u32 v8, vcc_lo, v0, s18
	v_add_co_ci_u32_e32 v9, vcc_lo, s17, v1, vcc_lo
	s_and_saveexec_b32 s16, s4
	s_cbranch_execz .LBB3_652
; %bb.651:
	v_mov_b32_e32 v4, s5
	v_mov_b32_e32 v6, 2
	;; [unrolled: 1-line block ×3, first 2 shown]
	global_store_dwordx4 v[8:9], v[4:7], off offset:8
.LBB3_652:
	s_or_b32 exec_lo, exec_lo, s16
	s_lshl_b64 s[14:15], s[14:15], 12
	s_mov_b32 s16, 0
	v_add_co_u32 v2, vcc_lo, v2, s14
	v_add_co_ci_u32_e32 v3, vcc_lo, s15, v3, vcc_lo
	s_mov_b32 s17, s16
	v_add_co_u32 v10, vcc_lo, v2, v36
	s_mov_b32 s18, s16
	s_mov_b32 s19, s16
	v_mov_b32_e32 v4, 33
	v_mov_b32_e32 v6, v5
	;; [unrolled: 1-line block ×3, first 2 shown]
	v_readfirstlane_b32 s14, v2
	v_readfirstlane_b32 s15, v3
	v_mov_b32_e32 v12, s16
	v_add_co_ci_u32_e32 v11, vcc_lo, 0, v3, vcc_lo
	v_mov_b32_e32 v13, s17
	v_mov_b32_e32 v14, s18
	;; [unrolled: 1-line block ×3, first 2 shown]
	global_store_dwordx4 v36, v[4:7], s[14:15]
	global_store_dwordx4 v36, v[12:15], s[14:15] offset:16
	global_store_dwordx4 v36, v[12:15], s[14:15] offset:32
	;; [unrolled: 1-line block ×3, first 2 shown]
	s_and_saveexec_b32 s5, s4
	s_cbranch_execz .LBB3_660
; %bb.653:
	v_mov_b32_e32 v6, 0
	v_mov_b32_e32 v12, s8
	;; [unrolled: 1-line block ×3, first 2 shown]
	s_clause 0x1
	global_load_dwordx2 v[14:15], v6, s[26:27] offset:32 glc dlc
	global_load_dwordx2 v[2:3], v6, s[26:27] offset:40
	s_waitcnt vmcnt(0)
	v_readfirstlane_b32 s14, v2
	v_readfirstlane_b32 s15, v3
	s_and_b64 s[14:15], s[14:15], s[8:9]
	s_mul_i32 s15, s15, 24
	s_mul_hi_u32 s16, s14, 24
	s_mul_i32 s14, s14, 24
	s_add_i32 s16, s16, s15
	v_add_co_u32 v4, vcc_lo, v0, s14
	v_add_co_ci_u32_e32 v5, vcc_lo, s16, v1, vcc_lo
	s_mov_b32 s14, exec_lo
	global_store_dwordx2 v[4:5], v[14:15], off
	s_waitcnt_vscnt null, 0x0
	global_atomic_cmpswap_x2 v[2:3], v6, v[12:15], s[26:27] offset:32 glc
	s_waitcnt vmcnt(0)
	v_cmpx_ne_u64_e64 v[2:3], v[14:15]
	s_cbranch_execz .LBB3_656
; %bb.654:
	s_mov_b32 s15, 0
.LBB3_655:                              ; =>This Inner Loop Header: Depth=1
	v_mov_b32_e32 v0, s8
	v_mov_b32_e32 v1, s9
	s_sleep 1
	global_store_dwordx2 v[4:5], v[2:3], off
	s_waitcnt_vscnt null, 0x0
	global_atomic_cmpswap_x2 v[0:1], v6, v[0:3], s[26:27] offset:32 glc
	s_waitcnt vmcnt(0)
	v_cmp_eq_u64_e32 vcc_lo, v[0:1], v[2:3]
	v_mov_b32_e32 v3, v1
	v_mov_b32_e32 v2, v0
	s_or_b32 s15, vcc_lo, s15
	s_andn2_b32 exec_lo, exec_lo, s15
	s_cbranch_execnz .LBB3_655
.LBB3_656:
	s_or_b32 exec_lo, exec_lo, s14
	v_mov_b32_e32 v3, 0
	s_mov_b32 s15, exec_lo
	s_mov_b32 s14, exec_lo
	v_mbcnt_lo_u32_b32 v2, s15, 0
	global_load_dwordx2 v[0:1], v3, s[26:27] offset:16
	v_cmpx_eq_u32_e32 0, v2
	s_cbranch_execz .LBB3_658
; %bb.657:
	s_bcnt1_i32_b32 s15, s15
	v_mov_b32_e32 v2, s15
	s_waitcnt vmcnt(0)
	global_atomic_add_x2 v[0:1], v[2:3], off offset:8
.LBB3_658:
	s_or_b32 exec_lo, exec_lo, s14
	s_waitcnt vmcnt(0)
	global_load_dwordx2 v[2:3], v[0:1], off offset:16
	s_waitcnt vmcnt(0)
	v_cmp_eq_u64_e32 vcc_lo, 0, v[2:3]
	s_cbranch_vccnz .LBB3_660
; %bb.659:
	global_load_dword v0, v[0:1], off offset:24
	v_mov_b32_e32 v1, 0
	s_waitcnt vmcnt(0)
	v_and_b32_e32 v4, 0x7fffff, v0
	s_waitcnt_vscnt null, 0x0
	global_store_dwordx2 v[2:3], v[0:1], off
	v_readfirstlane_b32 m0, v4
	s_sendmsg sendmsg(MSG_INTERRUPT)
.LBB3_660:
	s_or_b32 exec_lo, exec_lo, s5
	s_branch .LBB3_664
	.p2align	6
.LBB3_661:                              ;   in Loop: Header=BB3_664 Depth=1
	s_or_b32 exec_lo, exec_lo, s5
	v_readfirstlane_b32 s5, v0
	s_cmp_eq_u32 s5, 0
	s_cbranch_scc1 .LBB3_663
; %bb.662:                              ;   in Loop: Header=BB3_664 Depth=1
	s_sleep 1
	s_cbranch_execnz .LBB3_664
	s_branch .LBB3_666
	.p2align	6
.LBB3_663:
	s_branch .LBB3_666
.LBB3_664:                              ; =>This Inner Loop Header: Depth=1
	v_mov_b32_e32 v0, 1
	s_and_saveexec_b32 s5, s4
	s_cbranch_execz .LBB3_661
; %bb.665:                              ;   in Loop: Header=BB3_664 Depth=1
	global_load_dword v0, v[8:9], off offset:20 glc dlc
	s_waitcnt vmcnt(0)
	buffer_gl1_inv
	buffer_gl0_inv
	v_and_b32_e32 v0, 1, v0
	s_branch .LBB3_661
.LBB3_666:
	global_load_dwordx2 v[0:1], v[10:11], off
	s_and_saveexec_b32 s5, s4
	s_cbranch_execz .LBB3_670
; %bb.667:
	v_mov_b32_e32 v8, 0
	s_clause 0x2
	global_load_dwordx2 v[4:5], v8, s[26:27] offset:40
	global_load_dwordx2 v[9:10], v8, s[26:27] offset:24 glc dlc
	global_load_dwordx2 v[6:7], v8, s[26:27]
	s_waitcnt vmcnt(2)
	v_add_co_u32 v11, vcc_lo, v4, 1
	v_add_co_ci_u32_e32 v12, vcc_lo, 0, v5, vcc_lo
	v_add_co_u32 v2, vcc_lo, v11, s8
	v_add_co_ci_u32_e32 v3, vcc_lo, s9, v12, vcc_lo
	v_cmp_eq_u64_e32 vcc_lo, 0, v[2:3]
	v_cndmask_b32_e32 v3, v3, v12, vcc_lo
	v_cndmask_b32_e32 v2, v2, v11, vcc_lo
	v_and_b32_e32 v5, v3, v5
	v_and_b32_e32 v4, v2, v4
	v_mul_lo_u32 v5, v5, 24
	v_mul_hi_u32 v11, v4, 24
	v_mul_lo_u32 v4, v4, 24
	v_add_nc_u32_e32 v5, v11, v5
	s_waitcnt vmcnt(0)
	v_add_co_u32 v6, vcc_lo, v6, v4
	v_mov_b32_e32 v4, v9
	v_add_co_ci_u32_e32 v7, vcc_lo, v7, v5, vcc_lo
	v_mov_b32_e32 v5, v10
	global_store_dwordx2 v[6:7], v[9:10], off
	s_waitcnt_vscnt null, 0x0
	global_atomic_cmpswap_x2 v[4:5], v8, v[2:5], s[26:27] offset:24 glc
	s_waitcnt vmcnt(0)
	v_cmp_ne_u64_e32 vcc_lo, v[4:5], v[9:10]
	s_and_b32 exec_lo, exec_lo, vcc_lo
	s_cbranch_execz .LBB3_670
; %bb.668:
	s_mov_b32 s4, 0
.LBB3_669:                              ; =>This Inner Loop Header: Depth=1
	s_sleep 1
	global_store_dwordx2 v[6:7], v[4:5], off
	s_waitcnt_vscnt null, 0x0
	global_atomic_cmpswap_x2 v[9:10], v8, v[2:5], s[26:27] offset:24 glc
	s_waitcnt vmcnt(0)
	v_cmp_eq_u64_e32 vcc_lo, v[9:10], v[4:5]
	v_mov_b32_e32 v4, v9
	v_mov_b32_e32 v5, v10
	s_or_b32 s4, vcc_lo, s4
	s_andn2_b32 exec_lo, exec_lo, s4
	s_cbranch_execnz .LBB3_669
.LBB3_670:
	s_or_b32 exec_lo, exec_lo, s5
	s_and_b32 vcc_lo, exec_lo, s35
	s_cbranch_vccz .LBB3_749
; %bb.671:
	s_waitcnt vmcnt(0)
	v_and_b32_e32 v31, 2, v0
	v_mov_b32_e32 v6, 0
	v_and_b32_e32 v2, -3, v0
	v_mov_b32_e32 v3, v1
	v_mov_b32_e32 v7, 2
	;; [unrolled: 1-line block ×3, first 2 shown]
	s_mov_b64 s[14:15], 3
	s_getpc_b64 s[8:9]
	s_add_u32 s8, s8, .str.6@rel32@lo+4
	s_addc_u32 s9, s9, .str.6@rel32@hi+12
	s_branch .LBB3_673
.LBB3_672:                              ;   in Loop: Header=BB3_673 Depth=1
	s_or_b32 exec_lo, exec_lo, s5
	s_sub_u32 s14, s14, s16
	s_subb_u32 s15, s15, s17
	s_add_u32 s8, s8, s16
	s_addc_u32 s9, s9, s17
	s_cmp_lg_u64 s[14:15], 0
	s_cbranch_scc0 .LBB3_748
.LBB3_673:                              ; =>This Loop Header: Depth=1
                                        ;     Child Loop BB3_682 Depth 2
                                        ;     Child Loop BB3_678 Depth 2
	;; [unrolled: 1-line block ×11, first 2 shown]
	v_cmp_lt_u64_e64 s4, s[14:15], 56
	v_cmp_gt_u64_e64 s5, s[14:15], 7
                                        ; implicit-def: $vgpr11_vgpr12
                                        ; implicit-def: $sgpr23
	s_and_b32 s4, s4, exec_lo
	s_cselect_b32 s17, s15, 0
	s_cselect_b32 s16, s14, 56
	s_and_b32 vcc_lo, exec_lo, s5
	s_mov_b32 s4, -1
	s_cbranch_vccz .LBB3_680
; %bb.674:                              ;   in Loop: Header=BB3_673 Depth=1
	s_andn2_b32 vcc_lo, exec_lo, s4
	s_mov_b64 s[4:5], s[8:9]
	s_cbranch_vccz .LBB3_684
.LBB3_675:                              ;   in Loop: Header=BB3_673 Depth=1
	s_cmp_gt_u32 s23, 7
	s_cbranch_scc1 .LBB3_685
.LBB3_676:                              ;   in Loop: Header=BB3_673 Depth=1
	v_mov_b32_e32 v13, 0
	v_mov_b32_e32 v14, 0
	s_cmp_eq_u32 s23, 0
	s_cbranch_scc1 .LBB3_679
; %bb.677:                              ;   in Loop: Header=BB3_673 Depth=1
	s_mov_b64 s[18:19], 0
	s_mov_b64 s[20:21], 0
.LBB3_678:                              ;   Parent Loop BB3_673 Depth=1
                                        ; =>  This Inner Loop Header: Depth=2
	s_add_u32 s24, s4, s20
	s_addc_u32 s25, s5, s21
	s_add_u32 s20, s20, 1
	global_load_ubyte v4, v6, s[24:25]
	s_addc_u32 s21, s21, 0
	s_waitcnt vmcnt(0)
	v_and_b32_e32 v5, 0xffff, v4
	v_lshlrev_b64 v[4:5], s18, v[5:6]
	s_add_u32 s18, s18, 8
	s_addc_u32 s19, s19, 0
	s_cmp_lg_u32 s23, s20
	v_or_b32_e32 v13, v4, v13
	v_or_b32_e32 v14, v5, v14
	s_cbranch_scc1 .LBB3_678
.LBB3_679:                              ;   in Loop: Header=BB3_673 Depth=1
	s_mov_b32 s24, 0
	s_cbranch_execz .LBB3_686
	s_branch .LBB3_687
.LBB3_680:                              ;   in Loop: Header=BB3_673 Depth=1
	v_mov_b32_e32 v11, 0
	v_mov_b32_e32 v12, 0
	s_cmp_eq_u64 s[14:15], 0
	s_mov_b64 s[4:5], 0
	s_cbranch_scc1 .LBB3_683
; %bb.681:                              ;   in Loop: Header=BB3_673 Depth=1
	v_mov_b32_e32 v11, 0
	v_mov_b32_e32 v12, 0
	s_lshl_b64 s[18:19], s[16:17], 3
	s_mov_b64 s[20:21], s[8:9]
.LBB3_682:                              ;   Parent Loop BB3_673 Depth=1
                                        ; =>  This Inner Loop Header: Depth=2
	global_load_ubyte v4, v6, s[20:21]
	s_waitcnt vmcnt(0)
	v_and_b32_e32 v5, 0xffff, v4
	v_lshlrev_b64 v[4:5], s4, v[5:6]
	s_add_u32 s4, s4, 8
	s_addc_u32 s5, s5, 0
	s_add_u32 s20, s20, 1
	s_addc_u32 s21, s21, 0
	s_cmp_lg_u32 s18, s4
	v_or_b32_e32 v11, v4, v11
	v_or_b32_e32 v12, v5, v12
	s_cbranch_scc1 .LBB3_682
.LBB3_683:                              ;   in Loop: Header=BB3_673 Depth=1
	s_mov_b32 s23, 0
	s_mov_b64 s[4:5], s[8:9]
	s_cbranch_execnz .LBB3_675
.LBB3_684:                              ;   in Loop: Header=BB3_673 Depth=1
	global_load_dwordx2 v[11:12], v6, s[8:9]
	s_add_i32 s23, s16, -8
	s_add_u32 s4, s8, 8
	s_addc_u32 s5, s9, 0
	s_cmp_gt_u32 s23, 7
	s_cbranch_scc0 .LBB3_676
.LBB3_685:                              ;   in Loop: Header=BB3_673 Depth=1
                                        ; implicit-def: $vgpr13_vgpr14
                                        ; implicit-def: $sgpr24
.LBB3_686:                              ;   in Loop: Header=BB3_673 Depth=1
	global_load_dwordx2 v[13:14], v6, s[4:5]
	s_add_i32 s24, s23, -8
	s_add_u32 s4, s4, 8
	s_addc_u32 s5, s5, 0
.LBB3_687:                              ;   in Loop: Header=BB3_673 Depth=1
	s_cmp_gt_u32 s24, 7
	s_cbranch_scc1 .LBB3_692
; %bb.688:                              ;   in Loop: Header=BB3_673 Depth=1
	v_mov_b32_e32 v15, 0
	v_mov_b32_e32 v16, 0
	s_cmp_eq_u32 s24, 0
	s_cbranch_scc1 .LBB3_691
; %bb.689:                              ;   in Loop: Header=BB3_673 Depth=1
	s_mov_b64 s[18:19], 0
	s_mov_b64 s[20:21], 0
.LBB3_690:                              ;   Parent Loop BB3_673 Depth=1
                                        ; =>  This Inner Loop Header: Depth=2
	s_add_u32 s28, s4, s20
	s_addc_u32 s29, s5, s21
	s_add_u32 s20, s20, 1
	global_load_ubyte v4, v6, s[28:29]
	s_addc_u32 s21, s21, 0
	s_waitcnt vmcnt(0)
	v_and_b32_e32 v5, 0xffff, v4
	v_lshlrev_b64 v[4:5], s18, v[5:6]
	s_add_u32 s18, s18, 8
	s_addc_u32 s19, s19, 0
	s_cmp_lg_u32 s24, s20
	v_or_b32_e32 v15, v4, v15
	v_or_b32_e32 v16, v5, v16
	s_cbranch_scc1 .LBB3_690
.LBB3_691:                              ;   in Loop: Header=BB3_673 Depth=1
	s_mov_b32 s23, 0
	s_cbranch_execz .LBB3_693
	s_branch .LBB3_694
.LBB3_692:                              ;   in Loop: Header=BB3_673 Depth=1
                                        ; implicit-def: $sgpr23
.LBB3_693:                              ;   in Loop: Header=BB3_673 Depth=1
	global_load_dwordx2 v[15:16], v6, s[4:5]
	s_add_i32 s23, s24, -8
	s_add_u32 s4, s4, 8
	s_addc_u32 s5, s5, 0
.LBB3_694:                              ;   in Loop: Header=BB3_673 Depth=1
	s_cmp_gt_u32 s23, 7
	s_cbranch_scc1 .LBB3_699
; %bb.695:                              ;   in Loop: Header=BB3_673 Depth=1
	v_mov_b32_e32 v17, 0
	v_mov_b32_e32 v18, 0
	s_cmp_eq_u32 s23, 0
	s_cbranch_scc1 .LBB3_698
; %bb.696:                              ;   in Loop: Header=BB3_673 Depth=1
	s_mov_b64 s[18:19], 0
	s_mov_b64 s[20:21], 0
.LBB3_697:                              ;   Parent Loop BB3_673 Depth=1
                                        ; =>  This Inner Loop Header: Depth=2
	s_add_u32 s24, s4, s20
	s_addc_u32 s25, s5, s21
	s_add_u32 s20, s20, 1
	global_load_ubyte v4, v6, s[24:25]
	s_addc_u32 s21, s21, 0
	s_waitcnt vmcnt(0)
	v_and_b32_e32 v5, 0xffff, v4
	v_lshlrev_b64 v[4:5], s18, v[5:6]
	s_add_u32 s18, s18, 8
	s_addc_u32 s19, s19, 0
	s_cmp_lg_u32 s23, s20
	v_or_b32_e32 v17, v4, v17
	v_or_b32_e32 v18, v5, v18
	s_cbranch_scc1 .LBB3_697
.LBB3_698:                              ;   in Loop: Header=BB3_673 Depth=1
	s_mov_b32 s24, 0
	s_cbranch_execz .LBB3_700
	s_branch .LBB3_701
.LBB3_699:                              ;   in Loop: Header=BB3_673 Depth=1
                                        ; implicit-def: $vgpr17_vgpr18
                                        ; implicit-def: $sgpr24
.LBB3_700:                              ;   in Loop: Header=BB3_673 Depth=1
	global_load_dwordx2 v[17:18], v6, s[4:5]
	s_add_i32 s24, s23, -8
	s_add_u32 s4, s4, 8
	s_addc_u32 s5, s5, 0
.LBB3_701:                              ;   in Loop: Header=BB3_673 Depth=1
	s_cmp_gt_u32 s24, 7
	s_cbranch_scc1 .LBB3_706
; %bb.702:                              ;   in Loop: Header=BB3_673 Depth=1
	v_mov_b32_e32 v19, 0
	v_mov_b32_e32 v20, 0
	s_cmp_eq_u32 s24, 0
	s_cbranch_scc1 .LBB3_705
; %bb.703:                              ;   in Loop: Header=BB3_673 Depth=1
	s_mov_b64 s[18:19], 0
	s_mov_b64 s[20:21], 0
.LBB3_704:                              ;   Parent Loop BB3_673 Depth=1
                                        ; =>  This Inner Loop Header: Depth=2
	s_add_u32 s28, s4, s20
	s_addc_u32 s29, s5, s21
	s_add_u32 s20, s20, 1
	global_load_ubyte v4, v6, s[28:29]
	s_addc_u32 s21, s21, 0
	s_waitcnt vmcnt(0)
	v_and_b32_e32 v5, 0xffff, v4
	v_lshlrev_b64 v[4:5], s18, v[5:6]
	s_add_u32 s18, s18, 8
	s_addc_u32 s19, s19, 0
	s_cmp_lg_u32 s24, s20
	v_or_b32_e32 v19, v4, v19
	v_or_b32_e32 v20, v5, v20
	s_cbranch_scc1 .LBB3_704
.LBB3_705:                              ;   in Loop: Header=BB3_673 Depth=1
	s_mov_b32 s23, 0
	s_cbranch_execz .LBB3_707
	s_branch .LBB3_708
.LBB3_706:                              ;   in Loop: Header=BB3_673 Depth=1
                                        ; implicit-def: $sgpr23
.LBB3_707:                              ;   in Loop: Header=BB3_673 Depth=1
	global_load_dwordx2 v[19:20], v6, s[4:5]
	s_add_i32 s23, s24, -8
	s_add_u32 s4, s4, 8
	s_addc_u32 s5, s5, 0
.LBB3_708:                              ;   in Loop: Header=BB3_673 Depth=1
	s_cmp_gt_u32 s23, 7
	s_cbranch_scc1 .LBB3_713
; %bb.709:                              ;   in Loop: Header=BB3_673 Depth=1
	v_mov_b32_e32 v21, 0
	v_mov_b32_e32 v22, 0
	s_cmp_eq_u32 s23, 0
	s_cbranch_scc1 .LBB3_712
; %bb.710:                              ;   in Loop: Header=BB3_673 Depth=1
	s_mov_b64 s[18:19], 0
	s_mov_b64 s[20:21], 0
.LBB3_711:                              ;   Parent Loop BB3_673 Depth=1
                                        ; =>  This Inner Loop Header: Depth=2
	s_add_u32 s24, s4, s20
	s_addc_u32 s25, s5, s21
	s_add_u32 s20, s20, 1
	global_load_ubyte v4, v6, s[24:25]
	s_addc_u32 s21, s21, 0
	s_waitcnt vmcnt(0)
	v_and_b32_e32 v5, 0xffff, v4
	v_lshlrev_b64 v[4:5], s18, v[5:6]
	s_add_u32 s18, s18, 8
	s_addc_u32 s19, s19, 0
	s_cmp_lg_u32 s23, s20
	v_or_b32_e32 v21, v4, v21
	v_or_b32_e32 v22, v5, v22
	s_cbranch_scc1 .LBB3_711
.LBB3_712:                              ;   in Loop: Header=BB3_673 Depth=1
	s_mov_b32 s24, 0
	s_cbranch_execz .LBB3_714
	s_branch .LBB3_715
.LBB3_713:                              ;   in Loop: Header=BB3_673 Depth=1
                                        ; implicit-def: $vgpr21_vgpr22
                                        ; implicit-def: $sgpr24
.LBB3_714:                              ;   in Loop: Header=BB3_673 Depth=1
	global_load_dwordx2 v[21:22], v6, s[4:5]
	s_add_i32 s24, s23, -8
	s_add_u32 s4, s4, 8
	s_addc_u32 s5, s5, 0
.LBB3_715:                              ;   in Loop: Header=BB3_673 Depth=1
	s_cmp_gt_u32 s24, 7
	s_cbranch_scc1 .LBB3_720
; %bb.716:                              ;   in Loop: Header=BB3_673 Depth=1
	v_mov_b32_e32 v23, 0
	v_mov_b32_e32 v24, 0
	s_cmp_eq_u32 s24, 0
	s_cbranch_scc1 .LBB3_719
; %bb.717:                              ;   in Loop: Header=BB3_673 Depth=1
	s_mov_b64 s[18:19], 0
	s_mov_b64 s[20:21], s[4:5]
.LBB3_718:                              ;   Parent Loop BB3_673 Depth=1
                                        ; =>  This Inner Loop Header: Depth=2
	global_load_ubyte v4, v6, s[20:21]
	s_add_i32 s24, s24, -1
	s_waitcnt vmcnt(0)
	v_and_b32_e32 v5, 0xffff, v4
	v_lshlrev_b64 v[4:5], s18, v[5:6]
	s_add_u32 s18, s18, 8
	s_addc_u32 s19, s19, 0
	s_add_u32 s20, s20, 1
	s_addc_u32 s21, s21, 0
	s_cmp_lg_u32 s24, 0
	v_or_b32_e32 v23, v4, v23
	v_or_b32_e32 v24, v5, v24
	s_cbranch_scc1 .LBB3_718
.LBB3_719:                              ;   in Loop: Header=BB3_673 Depth=1
	s_cbranch_execz .LBB3_721
	s_branch .LBB3_722
.LBB3_720:                              ;   in Loop: Header=BB3_673 Depth=1
.LBB3_721:                              ;   in Loop: Header=BB3_673 Depth=1
	global_load_dwordx2 v[23:24], v6, s[4:5]
.LBB3_722:                              ;   in Loop: Header=BB3_673 Depth=1
	v_readfirstlane_b32 s4, v37
	s_waitcnt vmcnt(0)
	v_mov_b32_e32 v4, 0
	v_mov_b32_e32 v5, 0
	v_cmp_eq_u32_e64 s4, s4, v37
	s_and_saveexec_b32 s5, s4
	s_cbranch_execz .LBB3_728
; %bb.723:                              ;   in Loop: Header=BB3_673 Depth=1
	global_load_dwordx2 v[27:28], v6, s[26:27] offset:24 glc dlc
	s_waitcnt vmcnt(0)
	buffer_gl1_inv
	buffer_gl0_inv
	s_clause 0x1
	global_load_dwordx2 v[4:5], v6, s[26:27] offset:40
	global_load_dwordx2 v[9:10], v6, s[26:27]
	s_mov_b32 s18, exec_lo
	s_waitcnt vmcnt(1)
	v_and_b32_e32 v5, v5, v28
	v_and_b32_e32 v4, v4, v27
	v_mul_lo_u32 v5, v5, 24
	v_mul_hi_u32 v25, v4, 24
	v_mul_lo_u32 v4, v4, 24
	v_add_nc_u32_e32 v5, v25, v5
	s_waitcnt vmcnt(0)
	v_add_co_u32 v4, vcc_lo, v9, v4
	v_add_co_ci_u32_e32 v5, vcc_lo, v10, v5, vcc_lo
	global_load_dwordx2 v[25:26], v[4:5], off glc dlc
	s_waitcnt vmcnt(0)
	global_atomic_cmpswap_x2 v[4:5], v6, v[25:28], s[26:27] offset:24 glc
	s_waitcnt vmcnt(0)
	buffer_gl1_inv
	buffer_gl0_inv
	v_cmpx_ne_u64_e64 v[4:5], v[27:28]
	s_cbranch_execz .LBB3_727
; %bb.724:                              ;   in Loop: Header=BB3_673 Depth=1
	s_mov_b32 s19, 0
	.p2align	6
.LBB3_725:                              ;   Parent Loop BB3_673 Depth=1
                                        ; =>  This Inner Loop Header: Depth=2
	s_sleep 1
	s_clause 0x1
	global_load_dwordx2 v[9:10], v6, s[26:27] offset:40
	global_load_dwordx2 v[25:26], v6, s[26:27]
	v_mov_b32_e32 v28, v5
	v_mov_b32_e32 v27, v4
	s_waitcnt vmcnt(1)
	v_and_b32_e32 v4, v9, v27
	v_and_b32_e32 v9, v10, v28
	s_waitcnt vmcnt(0)
	v_mad_u64_u32 v[4:5], null, v4, 24, v[25:26]
	v_mad_u64_u32 v[9:10], null, v9, 24, v[5:6]
	v_mov_b32_e32 v5, v9
	global_load_dwordx2 v[25:26], v[4:5], off glc dlc
	s_waitcnt vmcnt(0)
	global_atomic_cmpswap_x2 v[4:5], v6, v[25:28], s[26:27] offset:24 glc
	s_waitcnt vmcnt(0)
	buffer_gl1_inv
	buffer_gl0_inv
	v_cmp_eq_u64_e32 vcc_lo, v[4:5], v[27:28]
	s_or_b32 s19, vcc_lo, s19
	s_andn2_b32 exec_lo, exec_lo, s19
	s_cbranch_execnz .LBB3_725
; %bb.726:                              ;   in Loop: Header=BB3_673 Depth=1
	s_or_b32 exec_lo, exec_lo, s19
.LBB3_727:                              ;   in Loop: Header=BB3_673 Depth=1
	s_or_b32 exec_lo, exec_lo, s18
.LBB3_728:                              ;   in Loop: Header=BB3_673 Depth=1
	s_or_b32 exec_lo, exec_lo, s5
	s_clause 0x1
	global_load_dwordx2 v[9:10], v6, s[26:27] offset:40
	global_load_dwordx4 v[25:28], v6, s[26:27]
	v_readfirstlane_b32 s18, v4
	v_readfirstlane_b32 s19, v5
	s_mov_b32 s5, exec_lo
	s_waitcnt vmcnt(1)
	v_readfirstlane_b32 s20, v9
	v_readfirstlane_b32 s21, v10
	s_and_b64 s[20:21], s[18:19], s[20:21]
	s_mul_i32 s23, s21, 24
	s_mul_hi_u32 s24, s20, 24
	s_mul_i32 s25, s20, 24
	s_add_i32 s24, s24, s23
	s_waitcnt vmcnt(0)
	v_add_co_u32 v29, vcc_lo, v25, s25
	v_add_co_ci_u32_e32 v30, vcc_lo, s24, v26, vcc_lo
	s_and_saveexec_b32 s23, s4
	s_cbranch_execz .LBB3_730
; %bb.729:                              ;   in Loop: Header=BB3_673 Depth=1
	v_mov_b32_e32 v5, s5
	global_store_dwordx4 v[29:30], v[5:8], off offset:8
.LBB3_730:                              ;   in Loop: Header=BB3_673 Depth=1
	s_or_b32 exec_lo, exec_lo, s23
	s_lshl_b64 s[20:21], s[20:21], 12
	v_cmp_gt_u64_e64 vcc_lo, s[14:15], 56
	v_or_b32_e32 v5, v2, v31
	v_add_co_u32 v27, s5, v27, s20
	v_add_co_ci_u32_e64 v28, s5, s21, v28, s5
	s_lshl_b32 s5, s16, 2
	v_or_b32_e32 v4, 0, v3
	v_cndmask_b32_e32 v2, v5, v2, vcc_lo
	s_add_i32 s5, s5, 28
	v_readfirstlane_b32 s20, v27
	s_and_b32 s5, s5, 0x1e0
	v_cndmask_b32_e32 v10, v4, v3, vcc_lo
	v_readfirstlane_b32 s21, v28
	v_and_or_b32 v9, 0xffffff1f, v2, s5
	global_store_dwordx4 v36, v[9:12], s[20:21]
	global_store_dwordx4 v36, v[13:16], s[20:21] offset:16
	global_store_dwordx4 v36, v[17:20], s[20:21] offset:32
	;; [unrolled: 1-line block ×3, first 2 shown]
	s_and_saveexec_b32 s5, s4
	s_cbranch_execz .LBB3_738
; %bb.731:                              ;   in Loop: Header=BB3_673 Depth=1
	s_clause 0x1
	global_load_dwordx2 v[13:14], v6, s[26:27] offset:32 glc dlc
	global_load_dwordx2 v[2:3], v6, s[26:27] offset:40
	v_mov_b32_e32 v11, s18
	v_mov_b32_e32 v12, s19
	s_waitcnt vmcnt(0)
	v_readfirstlane_b32 s20, v2
	v_readfirstlane_b32 s21, v3
	s_and_b64 s[20:21], s[20:21], s[18:19]
	s_mul_i32 s21, s21, 24
	s_mul_hi_u32 s23, s20, 24
	s_mul_i32 s20, s20, 24
	s_add_i32 s23, s23, s21
	v_add_co_u32 v9, vcc_lo, v25, s20
	v_add_co_ci_u32_e32 v10, vcc_lo, s23, v26, vcc_lo
	s_mov_b32 s20, exec_lo
	global_store_dwordx2 v[9:10], v[13:14], off
	s_waitcnt_vscnt null, 0x0
	global_atomic_cmpswap_x2 v[4:5], v6, v[11:14], s[26:27] offset:32 glc
	s_waitcnt vmcnt(0)
	v_cmpx_ne_u64_e64 v[4:5], v[13:14]
	s_cbranch_execz .LBB3_734
; %bb.732:                              ;   in Loop: Header=BB3_673 Depth=1
	s_mov_b32 s21, 0
.LBB3_733:                              ;   Parent Loop BB3_673 Depth=1
                                        ; =>  This Inner Loop Header: Depth=2
	v_mov_b32_e32 v2, s18
	v_mov_b32_e32 v3, s19
	s_sleep 1
	global_store_dwordx2 v[9:10], v[4:5], off
	s_waitcnt_vscnt null, 0x0
	global_atomic_cmpswap_x2 v[2:3], v6, v[2:5], s[26:27] offset:32 glc
	s_waitcnt vmcnt(0)
	v_cmp_eq_u64_e32 vcc_lo, v[2:3], v[4:5]
	v_mov_b32_e32 v5, v3
	v_mov_b32_e32 v4, v2
	s_or_b32 s21, vcc_lo, s21
	s_andn2_b32 exec_lo, exec_lo, s21
	s_cbranch_execnz .LBB3_733
.LBB3_734:                              ;   in Loop: Header=BB3_673 Depth=1
	s_or_b32 exec_lo, exec_lo, s20
	global_load_dwordx2 v[2:3], v6, s[26:27] offset:16
	s_mov_b32 s21, exec_lo
	s_mov_b32 s20, exec_lo
	v_mbcnt_lo_u32_b32 v4, s21, 0
	v_cmpx_eq_u32_e32 0, v4
	s_cbranch_execz .LBB3_736
; %bb.735:                              ;   in Loop: Header=BB3_673 Depth=1
	s_bcnt1_i32_b32 s21, s21
	v_mov_b32_e32 v5, s21
	s_waitcnt vmcnt(0)
	global_atomic_add_x2 v[2:3], v[5:6], off offset:8
.LBB3_736:                              ;   in Loop: Header=BB3_673 Depth=1
	s_or_b32 exec_lo, exec_lo, s20
	s_waitcnt vmcnt(0)
	global_load_dwordx2 v[9:10], v[2:3], off offset:16
	s_waitcnt vmcnt(0)
	v_cmp_eq_u64_e32 vcc_lo, 0, v[9:10]
	s_cbranch_vccnz .LBB3_738
; %bb.737:                              ;   in Loop: Header=BB3_673 Depth=1
	global_load_dword v5, v[2:3], off offset:24
	s_waitcnt vmcnt(0)
	v_and_b32_e32 v2, 0x7fffff, v5
	s_waitcnt_vscnt null, 0x0
	global_store_dwordx2 v[9:10], v[5:6], off
	v_readfirstlane_b32 m0, v2
	s_sendmsg sendmsg(MSG_INTERRUPT)
.LBB3_738:                              ;   in Loop: Header=BB3_673 Depth=1
	s_or_b32 exec_lo, exec_lo, s5
	v_add_co_u32 v2, vcc_lo, v27, v36
	v_add_co_ci_u32_e32 v3, vcc_lo, 0, v28, vcc_lo
	s_branch .LBB3_742
	.p2align	6
.LBB3_739:                              ;   in Loop: Header=BB3_742 Depth=2
	s_or_b32 exec_lo, exec_lo, s5
	v_readfirstlane_b32 s5, v4
	s_cmp_eq_u32 s5, 0
	s_cbranch_scc1 .LBB3_741
; %bb.740:                              ;   in Loop: Header=BB3_742 Depth=2
	s_sleep 1
	s_cbranch_execnz .LBB3_742
	s_branch .LBB3_744
	.p2align	6
.LBB3_741:                              ;   in Loop: Header=BB3_673 Depth=1
	s_branch .LBB3_744
.LBB3_742:                              ;   Parent Loop BB3_673 Depth=1
                                        ; =>  This Inner Loop Header: Depth=2
	v_mov_b32_e32 v4, 1
	s_and_saveexec_b32 s5, s4
	s_cbranch_execz .LBB3_739
; %bb.743:                              ;   in Loop: Header=BB3_742 Depth=2
	global_load_dword v4, v[29:30], off offset:20 glc dlc
	s_waitcnt vmcnt(0)
	buffer_gl1_inv
	buffer_gl0_inv
	v_and_b32_e32 v4, 1, v4
	s_branch .LBB3_739
.LBB3_744:                              ;   in Loop: Header=BB3_673 Depth=1
	global_load_dwordx4 v[2:5], v[2:3], off
	s_and_saveexec_b32 s5, s4
	s_cbranch_execz .LBB3_672
; %bb.745:                              ;   in Loop: Header=BB3_673 Depth=1
	s_clause 0x2
	global_load_dwordx2 v[4:5], v6, s[26:27] offset:40
	global_load_dwordx2 v[13:14], v6, s[26:27] offset:24 glc dlc
	global_load_dwordx2 v[11:12], v6, s[26:27]
	s_waitcnt vmcnt(2)
	v_add_co_u32 v15, vcc_lo, v4, 1
	v_add_co_ci_u32_e32 v16, vcc_lo, 0, v5, vcc_lo
	v_add_co_u32 v9, vcc_lo, v15, s18
	v_add_co_ci_u32_e32 v10, vcc_lo, s19, v16, vcc_lo
	v_cmp_eq_u64_e32 vcc_lo, 0, v[9:10]
	v_cndmask_b32_e32 v10, v10, v16, vcc_lo
	v_cndmask_b32_e32 v9, v9, v15, vcc_lo
	v_and_b32_e32 v5, v10, v5
	v_and_b32_e32 v4, v9, v4
	v_mul_lo_u32 v5, v5, 24
	v_mul_hi_u32 v15, v4, 24
	v_mul_lo_u32 v4, v4, 24
	v_add_nc_u32_e32 v5, v15, v5
	s_waitcnt vmcnt(0)
	v_add_co_u32 v4, vcc_lo, v11, v4
	v_mov_b32_e32 v11, v13
	v_add_co_ci_u32_e32 v5, vcc_lo, v12, v5, vcc_lo
	v_mov_b32_e32 v12, v14
	global_store_dwordx2 v[4:5], v[13:14], off
	s_waitcnt_vscnt null, 0x0
	global_atomic_cmpswap_x2 v[11:12], v6, v[9:12], s[26:27] offset:24 glc
	s_waitcnt vmcnt(0)
	v_cmp_ne_u64_e32 vcc_lo, v[11:12], v[13:14]
	s_and_b32 exec_lo, exec_lo, vcc_lo
	s_cbranch_execz .LBB3_672
; %bb.746:                              ;   in Loop: Header=BB3_673 Depth=1
	s_mov_b32 s4, 0
.LBB3_747:                              ;   Parent Loop BB3_673 Depth=1
                                        ; =>  This Inner Loop Header: Depth=2
	s_sleep 1
	global_store_dwordx2 v[4:5], v[11:12], off
	s_waitcnt_vscnt null, 0x0
	global_atomic_cmpswap_x2 v[13:14], v6, v[9:12], s[26:27] offset:24 glc
	s_waitcnt vmcnt(0)
	v_cmp_eq_u64_e32 vcc_lo, v[13:14], v[11:12]
	v_mov_b32_e32 v11, v13
	v_mov_b32_e32 v12, v14
	s_or_b32 s4, vcc_lo, s4
	s_andn2_b32 exec_lo, exec_lo, s4
	s_cbranch_execnz .LBB3_747
	s_branch .LBB3_672
.LBB3_748:
	s_branch .LBB3_777
.LBB3_749:
                                        ; implicit-def: $vgpr2_vgpr3
	s_cbranch_execz .LBB3_777
; %bb.750:
	v_readfirstlane_b32 s4, v37
	v_mov_b32_e32 v8, 0
	v_mov_b32_e32 v9, 0
	v_cmp_eq_u32_e64 s4, s4, v37
	s_and_saveexec_b32 s5, s4
	s_cbranch_execz .LBB3_756
; %bb.751:
	s_waitcnt vmcnt(0)
	v_mov_b32_e32 v2, 0
	s_mov_b32 s8, exec_lo
	global_load_dwordx2 v[5:6], v2, s[26:27] offset:24 glc dlc
	s_waitcnt vmcnt(0)
	buffer_gl1_inv
	buffer_gl0_inv
	s_clause 0x1
	global_load_dwordx2 v[3:4], v2, s[26:27] offset:40
	global_load_dwordx2 v[7:8], v2, s[26:27]
	s_waitcnt vmcnt(1)
	v_and_b32_e32 v4, v4, v6
	v_and_b32_e32 v3, v3, v5
	v_mul_lo_u32 v4, v4, 24
	v_mul_hi_u32 v9, v3, 24
	v_mul_lo_u32 v3, v3, 24
	v_add_nc_u32_e32 v4, v9, v4
	s_waitcnt vmcnt(0)
	v_add_co_u32 v3, vcc_lo, v7, v3
	v_add_co_ci_u32_e32 v4, vcc_lo, v8, v4, vcc_lo
	global_load_dwordx2 v[3:4], v[3:4], off glc dlc
	s_waitcnt vmcnt(0)
	global_atomic_cmpswap_x2 v[8:9], v2, v[3:6], s[26:27] offset:24 glc
	s_waitcnt vmcnt(0)
	buffer_gl1_inv
	buffer_gl0_inv
	v_cmpx_ne_u64_e64 v[8:9], v[5:6]
	s_cbranch_execz .LBB3_755
; %bb.752:
	s_mov_b32 s9, 0
	.p2align	6
.LBB3_753:                              ; =>This Inner Loop Header: Depth=1
	s_sleep 1
	s_clause 0x1
	global_load_dwordx2 v[3:4], v2, s[26:27] offset:40
	global_load_dwordx2 v[10:11], v2, s[26:27]
	v_mov_b32_e32 v5, v8
	v_mov_b32_e32 v6, v9
	s_waitcnt vmcnt(1)
	v_and_b32_e32 v3, v3, v5
	v_and_b32_e32 v4, v4, v6
	s_waitcnt vmcnt(0)
	v_mad_u64_u32 v[7:8], null, v3, 24, v[10:11]
	v_mov_b32_e32 v3, v8
	v_mad_u64_u32 v[3:4], null, v4, 24, v[3:4]
	v_mov_b32_e32 v8, v3
	global_load_dwordx2 v[3:4], v[7:8], off glc dlc
	s_waitcnt vmcnt(0)
	global_atomic_cmpswap_x2 v[8:9], v2, v[3:6], s[26:27] offset:24 glc
	s_waitcnt vmcnt(0)
	buffer_gl1_inv
	buffer_gl0_inv
	v_cmp_eq_u64_e32 vcc_lo, v[8:9], v[5:6]
	s_or_b32 s9, vcc_lo, s9
	s_andn2_b32 exec_lo, exec_lo, s9
	s_cbranch_execnz .LBB3_753
; %bb.754:
	s_or_b32 exec_lo, exec_lo, s9
.LBB3_755:
	s_or_b32 exec_lo, exec_lo, s8
.LBB3_756:
	s_or_b32 exec_lo, exec_lo, s5
	s_waitcnt vmcnt(0)
	v_mov_b32_e32 v2, 0
	v_readfirstlane_b32 s8, v8
	v_readfirstlane_b32 s9, v9
	s_mov_b32 s5, exec_lo
	s_clause 0x1
	global_load_dwordx2 v[10:11], v2, s[26:27] offset:40
	global_load_dwordx4 v[4:7], v2, s[26:27]
	s_waitcnt vmcnt(1)
	v_readfirstlane_b32 s14, v10
	v_readfirstlane_b32 s15, v11
	s_and_b64 s[14:15], s[8:9], s[14:15]
	s_mul_i32 s16, s15, 24
	s_mul_hi_u32 s17, s14, 24
	s_mul_i32 s18, s14, 24
	s_add_i32 s17, s17, s16
	s_waitcnt vmcnt(0)
	v_add_co_u32 v8, vcc_lo, v4, s18
	v_add_co_ci_u32_e32 v9, vcc_lo, s17, v5, vcc_lo
	s_and_saveexec_b32 s16, s4
	s_cbranch_execz .LBB3_758
; %bb.757:
	v_mov_b32_e32 v10, s5
	v_mov_b32_e32 v11, v2
	;; [unrolled: 1-line block ×4, first 2 shown]
	global_store_dwordx4 v[8:9], v[10:13], off offset:8
.LBB3_758:
	s_or_b32 exec_lo, exec_lo, s16
	s_lshl_b64 s[14:15], s[14:15], 12
	s_mov_b32 s16, 0
	v_add_co_u32 v6, vcc_lo, v6, s14
	v_add_co_ci_u32_e32 v7, vcc_lo, s15, v7, vcc_lo
	s_mov_b32 s17, s16
	v_readfirstlane_b32 s14, v6
	v_add_co_u32 v6, vcc_lo, v6, v36
	s_mov_b32 s18, s16
	s_mov_b32 s19, s16
	v_and_or_b32 v0, 0xffffff1f, v0, 32
	v_mov_b32_e32 v3, v2
	v_readfirstlane_b32 s15, v7
	v_mov_b32_e32 v10, s16
	v_add_co_ci_u32_e32 v7, vcc_lo, 0, v7, vcc_lo
	v_mov_b32_e32 v11, s17
	v_mov_b32_e32 v12, s18
	;; [unrolled: 1-line block ×3, first 2 shown]
	global_store_dwordx4 v36, v[0:3], s[14:15]
	global_store_dwordx4 v36, v[10:13], s[14:15] offset:16
	global_store_dwordx4 v36, v[10:13], s[14:15] offset:32
	;; [unrolled: 1-line block ×3, first 2 shown]
	s_and_saveexec_b32 s5, s4
	s_cbranch_execz .LBB3_766
; %bb.759:
	v_mov_b32_e32 v10, 0
	v_mov_b32_e32 v11, s8
	;; [unrolled: 1-line block ×3, first 2 shown]
	s_clause 0x1
	global_load_dwordx2 v[13:14], v10, s[26:27] offset:32 glc dlc
	global_load_dwordx2 v[0:1], v10, s[26:27] offset:40
	s_waitcnt vmcnt(0)
	v_readfirstlane_b32 s14, v0
	v_readfirstlane_b32 s15, v1
	s_and_b64 s[14:15], s[14:15], s[8:9]
	s_mul_i32 s15, s15, 24
	s_mul_hi_u32 s16, s14, 24
	s_mul_i32 s14, s14, 24
	s_add_i32 s16, s16, s15
	v_add_co_u32 v4, vcc_lo, v4, s14
	v_add_co_ci_u32_e32 v5, vcc_lo, s16, v5, vcc_lo
	s_mov_b32 s14, exec_lo
	global_store_dwordx2 v[4:5], v[13:14], off
	s_waitcnt_vscnt null, 0x0
	global_atomic_cmpswap_x2 v[2:3], v10, v[11:14], s[26:27] offset:32 glc
	s_waitcnt vmcnt(0)
	v_cmpx_ne_u64_e64 v[2:3], v[13:14]
	s_cbranch_execz .LBB3_762
; %bb.760:
	s_mov_b32 s15, 0
.LBB3_761:                              ; =>This Inner Loop Header: Depth=1
	v_mov_b32_e32 v0, s8
	v_mov_b32_e32 v1, s9
	s_sleep 1
	global_store_dwordx2 v[4:5], v[2:3], off
	s_waitcnt_vscnt null, 0x0
	global_atomic_cmpswap_x2 v[0:1], v10, v[0:3], s[26:27] offset:32 glc
	s_waitcnt vmcnt(0)
	v_cmp_eq_u64_e32 vcc_lo, v[0:1], v[2:3]
	v_mov_b32_e32 v3, v1
	v_mov_b32_e32 v2, v0
	s_or_b32 s15, vcc_lo, s15
	s_andn2_b32 exec_lo, exec_lo, s15
	s_cbranch_execnz .LBB3_761
.LBB3_762:
	s_or_b32 exec_lo, exec_lo, s14
	v_mov_b32_e32 v3, 0
	s_mov_b32 s15, exec_lo
	s_mov_b32 s14, exec_lo
	v_mbcnt_lo_u32_b32 v2, s15, 0
	global_load_dwordx2 v[0:1], v3, s[26:27] offset:16
	v_cmpx_eq_u32_e32 0, v2
	s_cbranch_execz .LBB3_764
; %bb.763:
	s_bcnt1_i32_b32 s15, s15
	v_mov_b32_e32 v2, s15
	s_waitcnt vmcnt(0)
	global_atomic_add_x2 v[0:1], v[2:3], off offset:8
.LBB3_764:
	s_or_b32 exec_lo, exec_lo, s14
	s_waitcnt vmcnt(0)
	global_load_dwordx2 v[2:3], v[0:1], off offset:16
	s_waitcnt vmcnt(0)
	v_cmp_eq_u64_e32 vcc_lo, 0, v[2:3]
	s_cbranch_vccnz .LBB3_766
; %bb.765:
	global_load_dword v0, v[0:1], off offset:24
	v_mov_b32_e32 v1, 0
	s_waitcnt vmcnt(0)
	v_and_b32_e32 v4, 0x7fffff, v0
	s_waitcnt_vscnt null, 0x0
	global_store_dwordx2 v[2:3], v[0:1], off
	v_readfirstlane_b32 m0, v4
	s_sendmsg sendmsg(MSG_INTERRUPT)
.LBB3_766:
	s_or_b32 exec_lo, exec_lo, s5
	s_branch .LBB3_770
	.p2align	6
.LBB3_767:                              ;   in Loop: Header=BB3_770 Depth=1
	s_or_b32 exec_lo, exec_lo, s5
	v_readfirstlane_b32 s5, v0
	s_cmp_eq_u32 s5, 0
	s_cbranch_scc1 .LBB3_769
; %bb.768:                              ;   in Loop: Header=BB3_770 Depth=1
	s_sleep 1
	s_cbranch_execnz .LBB3_770
	s_branch .LBB3_772
	.p2align	6
.LBB3_769:
	s_branch .LBB3_772
.LBB3_770:                              ; =>This Inner Loop Header: Depth=1
	v_mov_b32_e32 v0, 1
	s_and_saveexec_b32 s5, s4
	s_cbranch_execz .LBB3_767
; %bb.771:                              ;   in Loop: Header=BB3_770 Depth=1
	global_load_dword v0, v[8:9], off offset:20 glc dlc
	s_waitcnt vmcnt(0)
	buffer_gl1_inv
	buffer_gl0_inv
	v_and_b32_e32 v0, 1, v0
	s_branch .LBB3_767
.LBB3_772:
	global_load_dwordx2 v[2:3], v[6:7], off
	s_and_saveexec_b32 s5, s4
	s_cbranch_execz .LBB3_776
; %bb.773:
	v_mov_b32_e32 v8, 0
	s_clause 0x2
	global_load_dwordx2 v[0:1], v8, s[26:27] offset:40
	global_load_dwordx2 v[9:10], v8, s[26:27] offset:24 glc dlc
	global_load_dwordx2 v[6:7], v8, s[26:27]
	s_waitcnt vmcnt(2)
	v_add_co_u32 v11, vcc_lo, v0, 1
	v_add_co_ci_u32_e32 v12, vcc_lo, 0, v1, vcc_lo
	v_add_co_u32 v4, vcc_lo, v11, s8
	v_add_co_ci_u32_e32 v5, vcc_lo, s9, v12, vcc_lo
	v_cmp_eq_u64_e32 vcc_lo, 0, v[4:5]
	v_cndmask_b32_e32 v5, v5, v12, vcc_lo
	v_cndmask_b32_e32 v4, v4, v11, vcc_lo
	v_and_b32_e32 v1, v5, v1
	v_and_b32_e32 v0, v4, v0
	v_mul_lo_u32 v1, v1, 24
	v_mul_hi_u32 v11, v0, 24
	v_mul_lo_u32 v0, v0, 24
	v_add_nc_u32_e32 v1, v11, v1
	s_waitcnt vmcnt(0)
	v_add_co_u32 v0, vcc_lo, v6, v0
	v_mov_b32_e32 v6, v9
	v_add_co_ci_u32_e32 v1, vcc_lo, v7, v1, vcc_lo
	v_mov_b32_e32 v7, v10
	global_store_dwordx2 v[0:1], v[9:10], off
	s_waitcnt_vscnt null, 0x0
	global_atomic_cmpswap_x2 v[6:7], v8, v[4:7], s[26:27] offset:24 glc
	s_waitcnt vmcnt(0)
	v_cmp_ne_u64_e32 vcc_lo, v[6:7], v[9:10]
	s_and_b32 exec_lo, exec_lo, vcc_lo
	s_cbranch_execz .LBB3_776
; %bb.774:
	s_mov_b32 s4, 0
.LBB3_775:                              ; =>This Inner Loop Header: Depth=1
	s_sleep 1
	global_store_dwordx2 v[0:1], v[6:7], off
	s_waitcnt_vscnt null, 0x0
	global_atomic_cmpswap_x2 v[9:10], v8, v[4:7], s[26:27] offset:24 glc
	s_waitcnt vmcnt(0)
	v_cmp_eq_u64_e32 vcc_lo, v[9:10], v[6:7]
	v_mov_b32_e32 v6, v9
	v_mov_b32_e32 v7, v10
	s_or_b32 s4, vcc_lo, s4
	s_andn2_b32 exec_lo, exec_lo, s4
	s_cbranch_execnz .LBB3_775
.LBB3_776:
	s_or_b32 exec_lo, exec_lo, s5
.LBB3_777:
	v_readfirstlane_b32 s4, v37
	s_waitcnt vmcnt(0)
	v_mov_b32_e32 v0, 0
	v_mov_b32_e32 v1, 0
	v_cmp_eq_u32_e64 s4, s4, v37
	s_and_saveexec_b32 s5, s4
	s_cbranch_execz .LBB3_783
; %bb.778:
	v_mov_b32_e32 v4, 0
	s_mov_b32 s8, exec_lo
	global_load_dwordx2 v[7:8], v4, s[26:27] offset:24 glc dlc
	s_waitcnt vmcnt(0)
	buffer_gl1_inv
	buffer_gl0_inv
	s_clause 0x1
	global_load_dwordx2 v[0:1], v4, s[26:27] offset:40
	global_load_dwordx2 v[5:6], v4, s[26:27]
	s_waitcnt vmcnt(1)
	v_and_b32_e32 v1, v1, v8
	v_and_b32_e32 v0, v0, v7
	v_mul_lo_u32 v1, v1, 24
	v_mul_hi_u32 v9, v0, 24
	v_mul_lo_u32 v0, v0, 24
	v_add_nc_u32_e32 v1, v9, v1
	s_waitcnt vmcnt(0)
	v_add_co_u32 v0, vcc_lo, v5, v0
	v_add_co_ci_u32_e32 v1, vcc_lo, v6, v1, vcc_lo
	global_load_dwordx2 v[5:6], v[0:1], off glc dlc
	s_waitcnt vmcnt(0)
	global_atomic_cmpswap_x2 v[0:1], v4, v[5:8], s[26:27] offset:24 glc
	s_waitcnt vmcnt(0)
	buffer_gl1_inv
	buffer_gl0_inv
	v_cmpx_ne_u64_e64 v[0:1], v[7:8]
	s_cbranch_execz .LBB3_782
; %bb.779:
	s_mov_b32 s9, 0
	.p2align	6
.LBB3_780:                              ; =>This Inner Loop Header: Depth=1
	s_sleep 1
	s_clause 0x1
	global_load_dwordx2 v[5:6], v4, s[26:27] offset:40
	global_load_dwordx2 v[9:10], v4, s[26:27]
	v_mov_b32_e32 v8, v1
	v_mov_b32_e32 v7, v0
	s_waitcnt vmcnt(1)
	v_and_b32_e32 v0, v5, v7
	v_and_b32_e32 v5, v6, v8
	s_waitcnt vmcnt(0)
	v_mad_u64_u32 v[0:1], null, v0, 24, v[9:10]
	v_mad_u64_u32 v[5:6], null, v5, 24, v[1:2]
	v_mov_b32_e32 v1, v5
	global_load_dwordx2 v[5:6], v[0:1], off glc dlc
	s_waitcnt vmcnt(0)
	global_atomic_cmpswap_x2 v[0:1], v4, v[5:8], s[26:27] offset:24 glc
	s_waitcnt vmcnt(0)
	buffer_gl1_inv
	buffer_gl0_inv
	v_cmp_eq_u64_e32 vcc_lo, v[0:1], v[7:8]
	s_or_b32 s9, vcc_lo, s9
	s_andn2_b32 exec_lo, exec_lo, s9
	s_cbranch_execnz .LBB3_780
; %bb.781:
	s_or_b32 exec_lo, exec_lo, s9
.LBB3_782:
	s_or_b32 exec_lo, exec_lo, s8
.LBB3_783:
	s_or_b32 exec_lo, exec_lo, s5
	v_mov_b32_e32 v5, 0
	v_readfirstlane_b32 s8, v0
	v_readfirstlane_b32 s9, v1
	s_mov_b32 s5, exec_lo
	s_clause 0x1
	global_load_dwordx2 v[10:11], v5, s[26:27] offset:40
	global_load_dwordx4 v[6:9], v5, s[26:27]
	s_waitcnt vmcnt(1)
	v_readfirstlane_b32 s14, v10
	v_readfirstlane_b32 s15, v11
	s_and_b64 s[14:15], s[8:9], s[14:15]
	s_mul_i32 s16, s15, 24
	s_mul_hi_u32 s17, s14, 24
	s_mul_i32 s18, s14, 24
	s_add_i32 s17, s17, s16
	s_waitcnt vmcnt(0)
	v_add_co_u32 v10, vcc_lo, v6, s18
	v_add_co_ci_u32_e32 v11, vcc_lo, s17, v7, vcc_lo
	s_and_saveexec_b32 s16, s4
	s_cbranch_execz .LBB3_785
; %bb.784:
	v_mov_b32_e32 v4, s5
	v_mov_b32_e32 v13, v5
	;; [unrolled: 1-line block ×5, first 2 shown]
	global_store_dwordx4 v[10:11], v[12:15], off offset:8
.LBB3_785:
	s_or_b32 exec_lo, exec_lo, s16
	s_lshl_b64 s[14:15], s[14:15], 12
	s_mov_b32 s16, 0
	v_add_co_u32 v0, vcc_lo, v8, s14
	v_add_co_ci_u32_e32 v1, vcc_lo, s15, v9, vcc_lo
	s_mov_b32 s17, s16
	s_mov_b32 s18, s16
	s_mov_b32 s19, s16
	v_and_or_b32 v2, 0xffffff1d, v2, 34
	v_mov_b32_e32 v4, 58
	v_readfirstlane_b32 s14, v0
	v_readfirstlane_b32 s15, v1
	v_mov_b32_e32 v12, s16
	v_mov_b32_e32 v13, s17
	;; [unrolled: 1-line block ×4, first 2 shown]
	global_store_dwordx4 v36, v[2:5], s[14:15]
	global_store_dwordx4 v36, v[12:15], s[14:15] offset:16
	global_store_dwordx4 v36, v[12:15], s[14:15] offset:32
	;; [unrolled: 1-line block ×3, first 2 shown]
	s_and_saveexec_b32 s5, s4
	s_cbranch_execz .LBB3_793
; %bb.786:
	v_mov_b32_e32 v8, 0
	v_mov_b32_e32 v12, s8
	;; [unrolled: 1-line block ×3, first 2 shown]
	s_clause 0x1
	global_load_dwordx2 v[14:15], v8, s[26:27] offset:32 glc dlc
	global_load_dwordx2 v[0:1], v8, s[26:27] offset:40
	s_waitcnt vmcnt(0)
	v_readfirstlane_b32 s14, v0
	v_readfirstlane_b32 s15, v1
	s_and_b64 s[14:15], s[14:15], s[8:9]
	s_mul_i32 s15, s15, 24
	s_mul_hi_u32 s16, s14, 24
	s_mul_i32 s14, s14, 24
	s_add_i32 s16, s16, s15
	v_add_co_u32 v4, vcc_lo, v6, s14
	v_add_co_ci_u32_e32 v5, vcc_lo, s16, v7, vcc_lo
	s_mov_b32 s14, exec_lo
	global_store_dwordx2 v[4:5], v[14:15], off
	s_waitcnt_vscnt null, 0x0
	global_atomic_cmpswap_x2 v[2:3], v8, v[12:15], s[26:27] offset:32 glc
	s_waitcnt vmcnt(0)
	v_cmpx_ne_u64_e64 v[2:3], v[14:15]
	s_cbranch_execz .LBB3_789
; %bb.787:
	s_mov_b32 s15, 0
.LBB3_788:                              ; =>This Inner Loop Header: Depth=1
	v_mov_b32_e32 v0, s8
	v_mov_b32_e32 v1, s9
	s_sleep 1
	global_store_dwordx2 v[4:5], v[2:3], off
	s_waitcnt_vscnt null, 0x0
	global_atomic_cmpswap_x2 v[0:1], v8, v[0:3], s[26:27] offset:32 glc
	s_waitcnt vmcnt(0)
	v_cmp_eq_u64_e32 vcc_lo, v[0:1], v[2:3]
	v_mov_b32_e32 v3, v1
	v_mov_b32_e32 v2, v0
	s_or_b32 s15, vcc_lo, s15
	s_andn2_b32 exec_lo, exec_lo, s15
	s_cbranch_execnz .LBB3_788
.LBB3_789:
	s_or_b32 exec_lo, exec_lo, s14
	v_mov_b32_e32 v3, 0
	s_mov_b32 s15, exec_lo
	s_mov_b32 s14, exec_lo
	v_mbcnt_lo_u32_b32 v2, s15, 0
	global_load_dwordx2 v[0:1], v3, s[26:27] offset:16
	v_cmpx_eq_u32_e32 0, v2
	s_cbranch_execz .LBB3_791
; %bb.790:
	s_bcnt1_i32_b32 s15, s15
	v_mov_b32_e32 v2, s15
	s_waitcnt vmcnt(0)
	global_atomic_add_x2 v[0:1], v[2:3], off offset:8
.LBB3_791:
	s_or_b32 exec_lo, exec_lo, s14
	s_waitcnt vmcnt(0)
	global_load_dwordx2 v[2:3], v[0:1], off offset:16
	s_waitcnt vmcnt(0)
	v_cmp_eq_u64_e32 vcc_lo, 0, v[2:3]
	s_cbranch_vccnz .LBB3_793
; %bb.792:
	global_load_dword v0, v[0:1], off offset:24
	v_mov_b32_e32 v1, 0
	s_waitcnt vmcnt(0)
	v_and_b32_e32 v4, 0x7fffff, v0
	s_waitcnt_vscnt null, 0x0
	global_store_dwordx2 v[2:3], v[0:1], off
	v_readfirstlane_b32 m0, v4
	s_sendmsg sendmsg(MSG_INTERRUPT)
.LBB3_793:
	s_or_b32 exec_lo, exec_lo, s5
	s_branch .LBB3_797
	.p2align	6
.LBB3_794:                              ;   in Loop: Header=BB3_797 Depth=1
	s_or_b32 exec_lo, exec_lo, s5
	v_readfirstlane_b32 s5, v0
	s_cmp_eq_u32 s5, 0
	s_cbranch_scc1 .LBB3_796
; %bb.795:                              ;   in Loop: Header=BB3_797 Depth=1
	s_sleep 1
	s_cbranch_execnz .LBB3_797
	s_branch .LBB3_799
	.p2align	6
.LBB3_796:
	s_branch .LBB3_799
.LBB3_797:                              ; =>This Inner Loop Header: Depth=1
	v_mov_b32_e32 v0, 1
	s_and_saveexec_b32 s5, s4
	s_cbranch_execz .LBB3_794
; %bb.798:                              ;   in Loop: Header=BB3_797 Depth=1
	global_load_dword v0, v[10:11], off offset:20 glc dlc
	s_waitcnt vmcnt(0)
	buffer_gl1_inv
	buffer_gl0_inv
	v_and_b32_e32 v0, 1, v0
	s_branch .LBB3_794
.LBB3_799:
	s_and_saveexec_b32 s5, s4
	s_cbranch_execz .LBB3_803
; %bb.800:
	v_mov_b32_e32 v6, 0
	s_clause 0x2
	global_load_dwordx2 v[2:3], v6, s[26:27] offset:40
	global_load_dwordx2 v[7:8], v6, s[26:27] offset:24 glc dlc
	global_load_dwordx2 v[4:5], v6, s[26:27]
	s_waitcnt vmcnt(2)
	v_add_co_u32 v9, vcc_lo, v2, 1
	v_add_co_ci_u32_e32 v10, vcc_lo, 0, v3, vcc_lo
	v_add_co_u32 v0, vcc_lo, v9, s8
	v_add_co_ci_u32_e32 v1, vcc_lo, s9, v10, vcc_lo
	v_cmp_eq_u64_e32 vcc_lo, 0, v[0:1]
	v_cndmask_b32_e32 v1, v1, v10, vcc_lo
	v_cndmask_b32_e32 v0, v0, v9, vcc_lo
	v_and_b32_e32 v3, v1, v3
	v_and_b32_e32 v2, v0, v2
	v_mul_lo_u32 v3, v3, 24
	v_mul_hi_u32 v9, v2, 24
	v_mul_lo_u32 v2, v2, 24
	v_add_nc_u32_e32 v3, v9, v3
	s_waitcnt vmcnt(0)
	v_add_co_u32 v4, vcc_lo, v4, v2
	v_mov_b32_e32 v2, v7
	v_add_co_ci_u32_e32 v5, vcc_lo, v5, v3, vcc_lo
	v_mov_b32_e32 v3, v8
	global_store_dwordx2 v[4:5], v[7:8], off
	s_waitcnt_vscnt null, 0x0
	global_atomic_cmpswap_x2 v[2:3], v6, v[0:3], s[26:27] offset:24 glc
	s_waitcnt vmcnt(0)
	v_cmp_ne_u64_e32 vcc_lo, v[2:3], v[7:8]
	s_and_b32 exec_lo, exec_lo, vcc_lo
	s_cbranch_execz .LBB3_803
; %bb.801:
	s_mov_b32 s4, 0
.LBB3_802:                              ; =>This Inner Loop Header: Depth=1
	s_sleep 1
	global_store_dwordx2 v[4:5], v[2:3], off
	s_waitcnt_vscnt null, 0x0
	global_atomic_cmpswap_x2 v[7:8], v6, v[0:3], s[26:27] offset:24 glc
	s_waitcnt vmcnt(0)
	v_cmp_eq_u64_e32 vcc_lo, v[7:8], v[2:3]
	v_mov_b32_e32 v2, v7
	v_mov_b32_e32 v3, v8
	s_or_b32 s4, vcc_lo, s4
	s_andn2_b32 exec_lo, exec_lo, s4
	s_cbranch_execnz .LBB3_802
.LBB3_803:
	s_or_b32 exec_lo, exec_lo, s5
	v_readfirstlane_b32 s4, v37
	v_mov_b32_e32 v6, 0
	v_mov_b32_e32 v7, 0
	v_cmp_eq_u32_e64 s4, s4, v37
	s_and_saveexec_b32 s5, s4
	s_cbranch_execz .LBB3_809
; %bb.804:
	v_mov_b32_e32 v0, 0
	s_mov_b32 s8, exec_lo
	global_load_dwordx2 v[3:4], v0, s[26:27] offset:24 glc dlc
	s_waitcnt vmcnt(0)
	buffer_gl1_inv
	buffer_gl0_inv
	s_clause 0x1
	global_load_dwordx2 v[1:2], v0, s[26:27] offset:40
	global_load_dwordx2 v[5:6], v0, s[26:27]
	s_waitcnt vmcnt(1)
	v_and_b32_e32 v2, v2, v4
	v_and_b32_e32 v1, v1, v3
	v_mul_lo_u32 v2, v2, 24
	v_mul_hi_u32 v7, v1, 24
	v_mul_lo_u32 v1, v1, 24
	v_add_nc_u32_e32 v2, v7, v2
	s_waitcnt vmcnt(0)
	v_add_co_u32 v1, vcc_lo, v5, v1
	v_add_co_ci_u32_e32 v2, vcc_lo, v6, v2, vcc_lo
	global_load_dwordx2 v[1:2], v[1:2], off glc dlc
	s_waitcnt vmcnt(0)
	global_atomic_cmpswap_x2 v[6:7], v0, v[1:4], s[26:27] offset:24 glc
	s_waitcnt vmcnt(0)
	buffer_gl1_inv
	buffer_gl0_inv
	v_cmpx_ne_u64_e64 v[6:7], v[3:4]
	s_cbranch_execz .LBB3_808
; %bb.805:
	s_mov_b32 s9, 0
	.p2align	6
.LBB3_806:                              ; =>This Inner Loop Header: Depth=1
	s_sleep 1
	s_clause 0x1
	global_load_dwordx2 v[1:2], v0, s[26:27] offset:40
	global_load_dwordx2 v[8:9], v0, s[26:27]
	v_mov_b32_e32 v3, v6
	v_mov_b32_e32 v4, v7
	s_waitcnt vmcnt(1)
	v_and_b32_e32 v1, v1, v3
	v_and_b32_e32 v2, v2, v4
	s_waitcnt vmcnt(0)
	v_mad_u64_u32 v[5:6], null, v1, 24, v[8:9]
	v_mov_b32_e32 v1, v6
	v_mad_u64_u32 v[1:2], null, v2, 24, v[1:2]
	v_mov_b32_e32 v6, v1
	global_load_dwordx2 v[1:2], v[5:6], off glc dlc
	s_waitcnt vmcnt(0)
	global_atomic_cmpswap_x2 v[6:7], v0, v[1:4], s[26:27] offset:24 glc
	s_waitcnt vmcnt(0)
	buffer_gl1_inv
	buffer_gl0_inv
	v_cmp_eq_u64_e32 vcc_lo, v[6:7], v[3:4]
	s_or_b32 s9, vcc_lo, s9
	s_andn2_b32 exec_lo, exec_lo, s9
	s_cbranch_execnz .LBB3_806
; %bb.807:
	s_or_b32 exec_lo, exec_lo, s9
.LBB3_808:
	s_or_b32 exec_lo, exec_lo, s8
.LBB3_809:
	s_or_b32 exec_lo, exec_lo, s5
	v_mov_b32_e32 v5, 0
	v_readfirstlane_b32 s8, v6
	v_readfirstlane_b32 s9, v7
	s_mov_b32 s5, exec_lo
	s_clause 0x1
	global_load_dwordx2 v[8:9], v5, s[26:27] offset:40
	global_load_dwordx4 v[0:3], v5, s[26:27]
	s_waitcnt vmcnt(1)
	v_readfirstlane_b32 s14, v8
	v_readfirstlane_b32 s15, v9
	s_and_b64 s[14:15], s[8:9], s[14:15]
	s_mul_i32 s16, s15, 24
	s_mul_hi_u32 s17, s14, 24
	s_mul_i32 s18, s14, 24
	s_add_i32 s17, s17, s16
	s_waitcnt vmcnt(0)
	v_add_co_u32 v8, vcc_lo, v0, s18
	v_add_co_ci_u32_e32 v9, vcc_lo, s17, v1, vcc_lo
	s_and_saveexec_b32 s16, s4
	s_cbranch_execz .LBB3_811
; %bb.810:
	v_mov_b32_e32 v4, s5
	v_mov_b32_e32 v6, 2
	;; [unrolled: 1-line block ×3, first 2 shown]
	global_store_dwordx4 v[8:9], v[4:7], off offset:8
.LBB3_811:
	s_or_b32 exec_lo, exec_lo, s16
	s_lshl_b64 s[14:15], s[14:15], 12
	s_mov_b32 s16, 0
	v_add_co_u32 v2, vcc_lo, v2, s14
	v_add_co_ci_u32_e32 v3, vcc_lo, s15, v3, vcc_lo
	s_mov_b32 s17, s16
	v_add_co_u32 v10, vcc_lo, v2, v36
	s_mov_b32 s18, s16
	s_mov_b32 s19, s16
	v_mov_b32_e32 v4, 33
	v_mov_b32_e32 v6, v5
	;; [unrolled: 1-line block ×3, first 2 shown]
	v_readfirstlane_b32 s14, v2
	v_readfirstlane_b32 s15, v3
	v_mov_b32_e32 v12, s16
	v_add_co_ci_u32_e32 v11, vcc_lo, 0, v3, vcc_lo
	v_mov_b32_e32 v13, s17
	v_mov_b32_e32 v14, s18
	;; [unrolled: 1-line block ×3, first 2 shown]
	global_store_dwordx4 v36, v[4:7], s[14:15]
	global_store_dwordx4 v36, v[12:15], s[14:15] offset:16
	global_store_dwordx4 v36, v[12:15], s[14:15] offset:32
	;; [unrolled: 1-line block ×3, first 2 shown]
	s_and_saveexec_b32 s5, s4
	s_cbranch_execz .LBB3_819
; %bb.812:
	v_mov_b32_e32 v6, 0
	v_mov_b32_e32 v12, s8
	;; [unrolled: 1-line block ×3, first 2 shown]
	s_clause 0x1
	global_load_dwordx2 v[14:15], v6, s[26:27] offset:32 glc dlc
	global_load_dwordx2 v[2:3], v6, s[26:27] offset:40
	s_waitcnt vmcnt(0)
	v_readfirstlane_b32 s14, v2
	v_readfirstlane_b32 s15, v3
	s_and_b64 s[14:15], s[14:15], s[8:9]
	s_mul_i32 s15, s15, 24
	s_mul_hi_u32 s16, s14, 24
	s_mul_i32 s14, s14, 24
	s_add_i32 s16, s16, s15
	v_add_co_u32 v4, vcc_lo, v0, s14
	v_add_co_ci_u32_e32 v5, vcc_lo, s16, v1, vcc_lo
	s_mov_b32 s14, exec_lo
	global_store_dwordx2 v[4:5], v[14:15], off
	s_waitcnt_vscnt null, 0x0
	global_atomic_cmpswap_x2 v[2:3], v6, v[12:15], s[26:27] offset:32 glc
	s_waitcnt vmcnt(0)
	v_cmpx_ne_u64_e64 v[2:3], v[14:15]
	s_cbranch_execz .LBB3_815
; %bb.813:
	s_mov_b32 s15, 0
.LBB3_814:                              ; =>This Inner Loop Header: Depth=1
	v_mov_b32_e32 v0, s8
	v_mov_b32_e32 v1, s9
	s_sleep 1
	global_store_dwordx2 v[4:5], v[2:3], off
	s_waitcnt_vscnt null, 0x0
	global_atomic_cmpswap_x2 v[0:1], v6, v[0:3], s[26:27] offset:32 glc
	s_waitcnt vmcnt(0)
	v_cmp_eq_u64_e32 vcc_lo, v[0:1], v[2:3]
	v_mov_b32_e32 v3, v1
	v_mov_b32_e32 v2, v0
	s_or_b32 s15, vcc_lo, s15
	s_andn2_b32 exec_lo, exec_lo, s15
	s_cbranch_execnz .LBB3_814
.LBB3_815:
	s_or_b32 exec_lo, exec_lo, s14
	v_mov_b32_e32 v3, 0
	s_mov_b32 s15, exec_lo
	s_mov_b32 s14, exec_lo
	v_mbcnt_lo_u32_b32 v2, s15, 0
	global_load_dwordx2 v[0:1], v3, s[26:27] offset:16
	v_cmpx_eq_u32_e32 0, v2
	s_cbranch_execz .LBB3_817
; %bb.816:
	s_bcnt1_i32_b32 s15, s15
	v_mov_b32_e32 v2, s15
	s_waitcnt vmcnt(0)
	global_atomic_add_x2 v[0:1], v[2:3], off offset:8
.LBB3_817:
	s_or_b32 exec_lo, exec_lo, s14
	s_waitcnt vmcnt(0)
	global_load_dwordx2 v[2:3], v[0:1], off offset:16
	s_waitcnt vmcnt(0)
	v_cmp_eq_u64_e32 vcc_lo, 0, v[2:3]
	s_cbranch_vccnz .LBB3_819
; %bb.818:
	global_load_dword v0, v[0:1], off offset:24
	v_mov_b32_e32 v1, 0
	s_waitcnt vmcnt(0)
	v_and_b32_e32 v4, 0x7fffff, v0
	s_waitcnt_vscnt null, 0x0
	global_store_dwordx2 v[2:3], v[0:1], off
	v_readfirstlane_b32 m0, v4
	s_sendmsg sendmsg(MSG_INTERRUPT)
.LBB3_819:
	s_or_b32 exec_lo, exec_lo, s5
	s_branch .LBB3_823
	.p2align	6
.LBB3_820:                              ;   in Loop: Header=BB3_823 Depth=1
	s_or_b32 exec_lo, exec_lo, s5
	v_readfirstlane_b32 s5, v0
	s_cmp_eq_u32 s5, 0
	s_cbranch_scc1 .LBB3_822
; %bb.821:                              ;   in Loop: Header=BB3_823 Depth=1
	s_sleep 1
	s_cbranch_execnz .LBB3_823
	s_branch .LBB3_825
	.p2align	6
.LBB3_822:
	s_branch .LBB3_825
.LBB3_823:                              ; =>This Inner Loop Header: Depth=1
	v_mov_b32_e32 v0, 1
	s_and_saveexec_b32 s5, s4
	s_cbranch_execz .LBB3_820
; %bb.824:                              ;   in Loop: Header=BB3_823 Depth=1
	global_load_dword v0, v[8:9], off offset:20 glc dlc
	s_waitcnt vmcnt(0)
	buffer_gl1_inv
	buffer_gl0_inv
	v_and_b32_e32 v0, 1, v0
	s_branch .LBB3_820
.LBB3_825:
	global_load_dwordx2 v[0:1], v[10:11], off
	s_and_saveexec_b32 s5, s4
	s_cbranch_execz .LBB3_829
; %bb.826:
	v_mov_b32_e32 v8, 0
	s_clause 0x2
	global_load_dwordx2 v[4:5], v8, s[26:27] offset:40
	global_load_dwordx2 v[9:10], v8, s[26:27] offset:24 glc dlc
	global_load_dwordx2 v[6:7], v8, s[26:27]
	s_waitcnt vmcnt(2)
	v_add_co_u32 v11, vcc_lo, v4, 1
	v_add_co_ci_u32_e32 v12, vcc_lo, 0, v5, vcc_lo
	v_add_co_u32 v2, vcc_lo, v11, s8
	v_add_co_ci_u32_e32 v3, vcc_lo, s9, v12, vcc_lo
	v_cmp_eq_u64_e32 vcc_lo, 0, v[2:3]
	v_cndmask_b32_e32 v3, v3, v12, vcc_lo
	v_cndmask_b32_e32 v2, v2, v11, vcc_lo
	v_and_b32_e32 v5, v3, v5
	v_and_b32_e32 v4, v2, v4
	v_mul_lo_u32 v5, v5, 24
	v_mul_hi_u32 v11, v4, 24
	v_mul_lo_u32 v4, v4, 24
	v_add_nc_u32_e32 v5, v11, v5
	s_waitcnt vmcnt(0)
	v_add_co_u32 v6, vcc_lo, v6, v4
	v_mov_b32_e32 v4, v9
	v_add_co_ci_u32_e32 v7, vcc_lo, v7, v5, vcc_lo
	v_mov_b32_e32 v5, v10
	global_store_dwordx2 v[6:7], v[9:10], off
	s_waitcnt_vscnt null, 0x0
	global_atomic_cmpswap_x2 v[4:5], v8, v[2:5], s[26:27] offset:24 glc
	s_waitcnt vmcnt(0)
	v_cmp_ne_u64_e32 vcc_lo, v[4:5], v[9:10]
	s_and_b32 exec_lo, exec_lo, vcc_lo
	s_cbranch_execz .LBB3_829
; %bb.827:
	s_mov_b32 s4, 0
.LBB3_828:                              ; =>This Inner Loop Header: Depth=1
	s_sleep 1
	global_store_dwordx2 v[6:7], v[4:5], off
	s_waitcnt_vscnt null, 0x0
	global_atomic_cmpswap_x2 v[9:10], v8, v[2:5], s[26:27] offset:24 glc
	s_waitcnt vmcnt(0)
	v_cmp_eq_u64_e32 vcc_lo, v[9:10], v[4:5]
	v_mov_b32_e32 v4, v9
	v_mov_b32_e32 v5, v10
	s_or_b32 s4, vcc_lo, s4
	s_andn2_b32 exec_lo, exec_lo, s4
	s_cbranch_execnz .LBB3_828
.LBB3_829:
	s_or_b32 exec_lo, exec_lo, s5
	s_getpc_b64 s[8:9]
	s_add_u32 s8, s8, .str.7@rel32@lo+4
	s_addc_u32 s9, s9, .str.7@rel32@hi+12
	s_cmp_lg_u64 s[8:9], 0
	s_cbranch_scc0 .LBB3_908
; %bb.830:
	s_waitcnt vmcnt(0)
	v_and_b32_e32 v31, 2, v0
	v_mov_b32_e32 v6, 0
	v_and_b32_e32 v2, -3, v0
	v_mov_b32_e32 v3, v1
	v_mov_b32_e32 v7, 2
	;; [unrolled: 1-line block ×3, first 2 shown]
	s_mov_b64 s[14:15], 4
	s_branch .LBB3_832
.LBB3_831:                              ;   in Loop: Header=BB3_832 Depth=1
	s_or_b32 exec_lo, exec_lo, s5
	s_sub_u32 s14, s14, s16
	s_subb_u32 s15, s15, s17
	s_add_u32 s8, s8, s16
	s_addc_u32 s9, s9, s17
	s_cmp_lg_u64 s[14:15], 0
	s_cbranch_scc0 .LBB3_907
.LBB3_832:                              ; =>This Loop Header: Depth=1
                                        ;     Child Loop BB3_841 Depth 2
                                        ;     Child Loop BB3_837 Depth 2
	;; [unrolled: 1-line block ×11, first 2 shown]
	v_cmp_lt_u64_e64 s4, s[14:15], 56
	v_cmp_gt_u64_e64 s5, s[14:15], 7
                                        ; implicit-def: $vgpr11_vgpr12
                                        ; implicit-def: $sgpr23
	s_and_b32 s4, s4, exec_lo
	s_cselect_b32 s17, s15, 0
	s_cselect_b32 s16, s14, 56
	s_and_b32 vcc_lo, exec_lo, s5
	s_mov_b32 s4, -1
	s_cbranch_vccz .LBB3_839
; %bb.833:                              ;   in Loop: Header=BB3_832 Depth=1
	s_andn2_b32 vcc_lo, exec_lo, s4
	s_mov_b64 s[4:5], s[8:9]
	s_cbranch_vccz .LBB3_843
.LBB3_834:                              ;   in Loop: Header=BB3_832 Depth=1
	s_cmp_gt_u32 s23, 7
	s_cbranch_scc1 .LBB3_844
.LBB3_835:                              ;   in Loop: Header=BB3_832 Depth=1
	v_mov_b32_e32 v13, 0
	v_mov_b32_e32 v14, 0
	s_cmp_eq_u32 s23, 0
	s_cbranch_scc1 .LBB3_838
; %bb.836:                              ;   in Loop: Header=BB3_832 Depth=1
	s_mov_b64 s[18:19], 0
	s_mov_b64 s[20:21], 0
.LBB3_837:                              ;   Parent Loop BB3_832 Depth=1
                                        ; =>  This Inner Loop Header: Depth=2
	s_add_u32 s24, s4, s20
	s_addc_u32 s25, s5, s21
	s_add_u32 s20, s20, 1
	global_load_ubyte v4, v6, s[24:25]
	s_addc_u32 s21, s21, 0
	s_waitcnt vmcnt(0)
	v_and_b32_e32 v5, 0xffff, v4
	v_lshlrev_b64 v[4:5], s18, v[5:6]
	s_add_u32 s18, s18, 8
	s_addc_u32 s19, s19, 0
	s_cmp_lg_u32 s23, s20
	v_or_b32_e32 v13, v4, v13
	v_or_b32_e32 v14, v5, v14
	s_cbranch_scc1 .LBB3_837
.LBB3_838:                              ;   in Loop: Header=BB3_832 Depth=1
	s_mov_b32 s24, 0
	s_cbranch_execz .LBB3_845
	s_branch .LBB3_846
.LBB3_839:                              ;   in Loop: Header=BB3_832 Depth=1
	v_mov_b32_e32 v11, 0
	v_mov_b32_e32 v12, 0
	s_cmp_eq_u64 s[14:15], 0
	s_mov_b64 s[4:5], 0
	s_cbranch_scc1 .LBB3_842
; %bb.840:                              ;   in Loop: Header=BB3_832 Depth=1
	v_mov_b32_e32 v11, 0
	v_mov_b32_e32 v12, 0
	s_lshl_b64 s[18:19], s[16:17], 3
	s_mov_b64 s[20:21], s[8:9]
.LBB3_841:                              ;   Parent Loop BB3_832 Depth=1
                                        ; =>  This Inner Loop Header: Depth=2
	global_load_ubyte v4, v6, s[20:21]
	s_waitcnt vmcnt(0)
	v_and_b32_e32 v5, 0xffff, v4
	v_lshlrev_b64 v[4:5], s4, v[5:6]
	s_add_u32 s4, s4, 8
	s_addc_u32 s5, s5, 0
	s_add_u32 s20, s20, 1
	s_addc_u32 s21, s21, 0
	s_cmp_lg_u32 s18, s4
	v_or_b32_e32 v11, v4, v11
	v_or_b32_e32 v12, v5, v12
	s_cbranch_scc1 .LBB3_841
.LBB3_842:                              ;   in Loop: Header=BB3_832 Depth=1
	s_mov_b32 s23, 0
	s_mov_b64 s[4:5], s[8:9]
	s_cbranch_execnz .LBB3_834
.LBB3_843:                              ;   in Loop: Header=BB3_832 Depth=1
	global_load_dwordx2 v[11:12], v6, s[8:9]
	s_add_i32 s23, s16, -8
	s_add_u32 s4, s8, 8
	s_addc_u32 s5, s9, 0
	s_cmp_gt_u32 s23, 7
	s_cbranch_scc0 .LBB3_835
.LBB3_844:                              ;   in Loop: Header=BB3_832 Depth=1
                                        ; implicit-def: $vgpr13_vgpr14
                                        ; implicit-def: $sgpr24
.LBB3_845:                              ;   in Loop: Header=BB3_832 Depth=1
	global_load_dwordx2 v[13:14], v6, s[4:5]
	s_add_i32 s24, s23, -8
	s_add_u32 s4, s4, 8
	s_addc_u32 s5, s5, 0
.LBB3_846:                              ;   in Loop: Header=BB3_832 Depth=1
	s_cmp_gt_u32 s24, 7
	s_cbranch_scc1 .LBB3_851
; %bb.847:                              ;   in Loop: Header=BB3_832 Depth=1
	v_mov_b32_e32 v15, 0
	v_mov_b32_e32 v16, 0
	s_cmp_eq_u32 s24, 0
	s_cbranch_scc1 .LBB3_850
; %bb.848:                              ;   in Loop: Header=BB3_832 Depth=1
	s_mov_b64 s[18:19], 0
	s_mov_b64 s[20:21], 0
.LBB3_849:                              ;   Parent Loop BB3_832 Depth=1
                                        ; =>  This Inner Loop Header: Depth=2
	s_add_u32 s28, s4, s20
	s_addc_u32 s29, s5, s21
	s_add_u32 s20, s20, 1
	global_load_ubyte v4, v6, s[28:29]
	s_addc_u32 s21, s21, 0
	s_waitcnt vmcnt(0)
	v_and_b32_e32 v5, 0xffff, v4
	v_lshlrev_b64 v[4:5], s18, v[5:6]
	s_add_u32 s18, s18, 8
	s_addc_u32 s19, s19, 0
	s_cmp_lg_u32 s24, s20
	v_or_b32_e32 v15, v4, v15
	v_or_b32_e32 v16, v5, v16
	s_cbranch_scc1 .LBB3_849
.LBB3_850:                              ;   in Loop: Header=BB3_832 Depth=1
	s_mov_b32 s23, 0
	s_cbranch_execz .LBB3_852
	s_branch .LBB3_853
.LBB3_851:                              ;   in Loop: Header=BB3_832 Depth=1
                                        ; implicit-def: $sgpr23
.LBB3_852:                              ;   in Loop: Header=BB3_832 Depth=1
	global_load_dwordx2 v[15:16], v6, s[4:5]
	s_add_i32 s23, s24, -8
	s_add_u32 s4, s4, 8
	s_addc_u32 s5, s5, 0
.LBB3_853:                              ;   in Loop: Header=BB3_832 Depth=1
	s_cmp_gt_u32 s23, 7
	s_cbranch_scc1 .LBB3_858
; %bb.854:                              ;   in Loop: Header=BB3_832 Depth=1
	v_mov_b32_e32 v17, 0
	v_mov_b32_e32 v18, 0
	s_cmp_eq_u32 s23, 0
	s_cbranch_scc1 .LBB3_857
; %bb.855:                              ;   in Loop: Header=BB3_832 Depth=1
	s_mov_b64 s[18:19], 0
	s_mov_b64 s[20:21], 0
.LBB3_856:                              ;   Parent Loop BB3_832 Depth=1
                                        ; =>  This Inner Loop Header: Depth=2
	s_add_u32 s24, s4, s20
	s_addc_u32 s25, s5, s21
	s_add_u32 s20, s20, 1
	global_load_ubyte v4, v6, s[24:25]
	s_addc_u32 s21, s21, 0
	s_waitcnt vmcnt(0)
	v_and_b32_e32 v5, 0xffff, v4
	v_lshlrev_b64 v[4:5], s18, v[5:6]
	s_add_u32 s18, s18, 8
	s_addc_u32 s19, s19, 0
	s_cmp_lg_u32 s23, s20
	v_or_b32_e32 v17, v4, v17
	v_or_b32_e32 v18, v5, v18
	s_cbranch_scc1 .LBB3_856
.LBB3_857:                              ;   in Loop: Header=BB3_832 Depth=1
	s_mov_b32 s24, 0
	s_cbranch_execz .LBB3_859
	s_branch .LBB3_860
.LBB3_858:                              ;   in Loop: Header=BB3_832 Depth=1
                                        ; implicit-def: $vgpr17_vgpr18
                                        ; implicit-def: $sgpr24
.LBB3_859:                              ;   in Loop: Header=BB3_832 Depth=1
	global_load_dwordx2 v[17:18], v6, s[4:5]
	s_add_i32 s24, s23, -8
	s_add_u32 s4, s4, 8
	s_addc_u32 s5, s5, 0
.LBB3_860:                              ;   in Loop: Header=BB3_832 Depth=1
	s_cmp_gt_u32 s24, 7
	s_cbranch_scc1 .LBB3_865
; %bb.861:                              ;   in Loop: Header=BB3_832 Depth=1
	v_mov_b32_e32 v19, 0
	v_mov_b32_e32 v20, 0
	s_cmp_eq_u32 s24, 0
	s_cbranch_scc1 .LBB3_864
; %bb.862:                              ;   in Loop: Header=BB3_832 Depth=1
	s_mov_b64 s[18:19], 0
	s_mov_b64 s[20:21], 0
.LBB3_863:                              ;   Parent Loop BB3_832 Depth=1
                                        ; =>  This Inner Loop Header: Depth=2
	s_add_u32 s28, s4, s20
	s_addc_u32 s29, s5, s21
	s_add_u32 s20, s20, 1
	global_load_ubyte v4, v6, s[28:29]
	s_addc_u32 s21, s21, 0
	s_waitcnt vmcnt(0)
	v_and_b32_e32 v5, 0xffff, v4
	v_lshlrev_b64 v[4:5], s18, v[5:6]
	s_add_u32 s18, s18, 8
	s_addc_u32 s19, s19, 0
	s_cmp_lg_u32 s24, s20
	v_or_b32_e32 v19, v4, v19
	v_or_b32_e32 v20, v5, v20
	s_cbranch_scc1 .LBB3_863
.LBB3_864:                              ;   in Loop: Header=BB3_832 Depth=1
	s_mov_b32 s23, 0
	s_cbranch_execz .LBB3_866
	s_branch .LBB3_867
.LBB3_865:                              ;   in Loop: Header=BB3_832 Depth=1
                                        ; implicit-def: $sgpr23
.LBB3_866:                              ;   in Loop: Header=BB3_832 Depth=1
	global_load_dwordx2 v[19:20], v6, s[4:5]
	s_add_i32 s23, s24, -8
	s_add_u32 s4, s4, 8
	s_addc_u32 s5, s5, 0
.LBB3_867:                              ;   in Loop: Header=BB3_832 Depth=1
	s_cmp_gt_u32 s23, 7
	s_cbranch_scc1 .LBB3_872
; %bb.868:                              ;   in Loop: Header=BB3_832 Depth=1
	v_mov_b32_e32 v21, 0
	v_mov_b32_e32 v22, 0
	s_cmp_eq_u32 s23, 0
	s_cbranch_scc1 .LBB3_871
; %bb.869:                              ;   in Loop: Header=BB3_832 Depth=1
	s_mov_b64 s[18:19], 0
	s_mov_b64 s[20:21], 0
.LBB3_870:                              ;   Parent Loop BB3_832 Depth=1
                                        ; =>  This Inner Loop Header: Depth=2
	s_add_u32 s24, s4, s20
	s_addc_u32 s25, s5, s21
	s_add_u32 s20, s20, 1
	global_load_ubyte v4, v6, s[24:25]
	s_addc_u32 s21, s21, 0
	s_waitcnt vmcnt(0)
	v_and_b32_e32 v5, 0xffff, v4
	v_lshlrev_b64 v[4:5], s18, v[5:6]
	s_add_u32 s18, s18, 8
	s_addc_u32 s19, s19, 0
	s_cmp_lg_u32 s23, s20
	v_or_b32_e32 v21, v4, v21
	v_or_b32_e32 v22, v5, v22
	s_cbranch_scc1 .LBB3_870
.LBB3_871:                              ;   in Loop: Header=BB3_832 Depth=1
	s_mov_b32 s24, 0
	s_cbranch_execz .LBB3_873
	s_branch .LBB3_874
.LBB3_872:                              ;   in Loop: Header=BB3_832 Depth=1
                                        ; implicit-def: $vgpr21_vgpr22
                                        ; implicit-def: $sgpr24
.LBB3_873:                              ;   in Loop: Header=BB3_832 Depth=1
	global_load_dwordx2 v[21:22], v6, s[4:5]
	s_add_i32 s24, s23, -8
	s_add_u32 s4, s4, 8
	s_addc_u32 s5, s5, 0
.LBB3_874:                              ;   in Loop: Header=BB3_832 Depth=1
	s_cmp_gt_u32 s24, 7
	s_cbranch_scc1 .LBB3_879
; %bb.875:                              ;   in Loop: Header=BB3_832 Depth=1
	v_mov_b32_e32 v23, 0
	v_mov_b32_e32 v24, 0
	s_cmp_eq_u32 s24, 0
	s_cbranch_scc1 .LBB3_878
; %bb.876:                              ;   in Loop: Header=BB3_832 Depth=1
	s_mov_b64 s[18:19], 0
	s_mov_b64 s[20:21], s[4:5]
.LBB3_877:                              ;   Parent Loop BB3_832 Depth=1
                                        ; =>  This Inner Loop Header: Depth=2
	global_load_ubyte v4, v6, s[20:21]
	s_add_i32 s24, s24, -1
	s_waitcnt vmcnt(0)
	v_and_b32_e32 v5, 0xffff, v4
	v_lshlrev_b64 v[4:5], s18, v[5:6]
	s_add_u32 s18, s18, 8
	s_addc_u32 s19, s19, 0
	s_add_u32 s20, s20, 1
	s_addc_u32 s21, s21, 0
	s_cmp_lg_u32 s24, 0
	v_or_b32_e32 v23, v4, v23
	v_or_b32_e32 v24, v5, v24
	s_cbranch_scc1 .LBB3_877
.LBB3_878:                              ;   in Loop: Header=BB3_832 Depth=1
	s_cbranch_execz .LBB3_880
	s_branch .LBB3_881
.LBB3_879:                              ;   in Loop: Header=BB3_832 Depth=1
.LBB3_880:                              ;   in Loop: Header=BB3_832 Depth=1
	global_load_dwordx2 v[23:24], v6, s[4:5]
.LBB3_881:                              ;   in Loop: Header=BB3_832 Depth=1
	v_readfirstlane_b32 s4, v37
	s_waitcnt vmcnt(0)
	v_mov_b32_e32 v4, 0
	v_mov_b32_e32 v5, 0
	v_cmp_eq_u32_e64 s4, s4, v37
	s_and_saveexec_b32 s5, s4
	s_cbranch_execz .LBB3_887
; %bb.882:                              ;   in Loop: Header=BB3_832 Depth=1
	global_load_dwordx2 v[27:28], v6, s[26:27] offset:24 glc dlc
	s_waitcnt vmcnt(0)
	buffer_gl1_inv
	buffer_gl0_inv
	s_clause 0x1
	global_load_dwordx2 v[4:5], v6, s[26:27] offset:40
	global_load_dwordx2 v[9:10], v6, s[26:27]
	s_mov_b32 s18, exec_lo
	s_waitcnt vmcnt(1)
	v_and_b32_e32 v5, v5, v28
	v_and_b32_e32 v4, v4, v27
	v_mul_lo_u32 v5, v5, 24
	v_mul_hi_u32 v25, v4, 24
	v_mul_lo_u32 v4, v4, 24
	v_add_nc_u32_e32 v5, v25, v5
	s_waitcnt vmcnt(0)
	v_add_co_u32 v4, vcc_lo, v9, v4
	v_add_co_ci_u32_e32 v5, vcc_lo, v10, v5, vcc_lo
	global_load_dwordx2 v[25:26], v[4:5], off glc dlc
	s_waitcnt vmcnt(0)
	global_atomic_cmpswap_x2 v[4:5], v6, v[25:28], s[26:27] offset:24 glc
	s_waitcnt vmcnt(0)
	buffer_gl1_inv
	buffer_gl0_inv
	v_cmpx_ne_u64_e64 v[4:5], v[27:28]
	s_cbranch_execz .LBB3_886
; %bb.883:                              ;   in Loop: Header=BB3_832 Depth=1
	s_mov_b32 s19, 0
	.p2align	6
.LBB3_884:                              ;   Parent Loop BB3_832 Depth=1
                                        ; =>  This Inner Loop Header: Depth=2
	s_sleep 1
	s_clause 0x1
	global_load_dwordx2 v[9:10], v6, s[26:27] offset:40
	global_load_dwordx2 v[25:26], v6, s[26:27]
	v_mov_b32_e32 v28, v5
	v_mov_b32_e32 v27, v4
	s_waitcnt vmcnt(1)
	v_and_b32_e32 v4, v9, v27
	v_and_b32_e32 v9, v10, v28
	s_waitcnt vmcnt(0)
	v_mad_u64_u32 v[4:5], null, v4, 24, v[25:26]
	v_mad_u64_u32 v[9:10], null, v9, 24, v[5:6]
	v_mov_b32_e32 v5, v9
	global_load_dwordx2 v[25:26], v[4:5], off glc dlc
	s_waitcnt vmcnt(0)
	global_atomic_cmpswap_x2 v[4:5], v6, v[25:28], s[26:27] offset:24 glc
	s_waitcnt vmcnt(0)
	buffer_gl1_inv
	buffer_gl0_inv
	v_cmp_eq_u64_e32 vcc_lo, v[4:5], v[27:28]
	s_or_b32 s19, vcc_lo, s19
	s_andn2_b32 exec_lo, exec_lo, s19
	s_cbranch_execnz .LBB3_884
; %bb.885:                              ;   in Loop: Header=BB3_832 Depth=1
	s_or_b32 exec_lo, exec_lo, s19
.LBB3_886:                              ;   in Loop: Header=BB3_832 Depth=1
	s_or_b32 exec_lo, exec_lo, s18
.LBB3_887:                              ;   in Loop: Header=BB3_832 Depth=1
	s_or_b32 exec_lo, exec_lo, s5
	s_clause 0x1
	global_load_dwordx2 v[9:10], v6, s[26:27] offset:40
	global_load_dwordx4 v[25:28], v6, s[26:27]
	v_readfirstlane_b32 s18, v4
	v_readfirstlane_b32 s19, v5
	s_mov_b32 s5, exec_lo
	s_waitcnt vmcnt(1)
	v_readfirstlane_b32 s20, v9
	v_readfirstlane_b32 s21, v10
	s_and_b64 s[20:21], s[18:19], s[20:21]
	s_mul_i32 s23, s21, 24
	s_mul_hi_u32 s24, s20, 24
	s_mul_i32 s25, s20, 24
	s_add_i32 s24, s24, s23
	s_waitcnt vmcnt(0)
	v_add_co_u32 v29, vcc_lo, v25, s25
	v_add_co_ci_u32_e32 v30, vcc_lo, s24, v26, vcc_lo
	s_and_saveexec_b32 s23, s4
	s_cbranch_execz .LBB3_889
; %bb.888:                              ;   in Loop: Header=BB3_832 Depth=1
	v_mov_b32_e32 v5, s5
	global_store_dwordx4 v[29:30], v[5:8], off offset:8
.LBB3_889:                              ;   in Loop: Header=BB3_832 Depth=1
	s_or_b32 exec_lo, exec_lo, s23
	s_lshl_b64 s[20:21], s[20:21], 12
	v_cmp_gt_u64_e64 vcc_lo, s[14:15], 56
	v_or_b32_e32 v5, v2, v31
	v_add_co_u32 v27, s5, v27, s20
	v_add_co_ci_u32_e64 v28, s5, s21, v28, s5
	s_lshl_b32 s5, s16, 2
	v_or_b32_e32 v4, 0, v3
	v_cndmask_b32_e32 v2, v5, v2, vcc_lo
	s_add_i32 s5, s5, 28
	v_readfirstlane_b32 s20, v27
	s_and_b32 s5, s5, 0x1e0
	v_cndmask_b32_e32 v10, v4, v3, vcc_lo
	v_readfirstlane_b32 s21, v28
	v_and_or_b32 v9, 0xffffff1f, v2, s5
	global_store_dwordx4 v36, v[9:12], s[20:21]
	global_store_dwordx4 v36, v[13:16], s[20:21] offset:16
	global_store_dwordx4 v36, v[17:20], s[20:21] offset:32
	;; [unrolled: 1-line block ×3, first 2 shown]
	s_and_saveexec_b32 s5, s4
	s_cbranch_execz .LBB3_897
; %bb.890:                              ;   in Loop: Header=BB3_832 Depth=1
	s_clause 0x1
	global_load_dwordx2 v[13:14], v6, s[26:27] offset:32 glc dlc
	global_load_dwordx2 v[2:3], v6, s[26:27] offset:40
	v_mov_b32_e32 v11, s18
	v_mov_b32_e32 v12, s19
	s_waitcnt vmcnt(0)
	v_readfirstlane_b32 s20, v2
	v_readfirstlane_b32 s21, v3
	s_and_b64 s[20:21], s[20:21], s[18:19]
	s_mul_i32 s21, s21, 24
	s_mul_hi_u32 s23, s20, 24
	s_mul_i32 s20, s20, 24
	s_add_i32 s23, s23, s21
	v_add_co_u32 v9, vcc_lo, v25, s20
	v_add_co_ci_u32_e32 v10, vcc_lo, s23, v26, vcc_lo
	s_mov_b32 s20, exec_lo
	global_store_dwordx2 v[9:10], v[13:14], off
	s_waitcnt_vscnt null, 0x0
	global_atomic_cmpswap_x2 v[4:5], v6, v[11:14], s[26:27] offset:32 glc
	s_waitcnt vmcnt(0)
	v_cmpx_ne_u64_e64 v[4:5], v[13:14]
	s_cbranch_execz .LBB3_893
; %bb.891:                              ;   in Loop: Header=BB3_832 Depth=1
	s_mov_b32 s21, 0
.LBB3_892:                              ;   Parent Loop BB3_832 Depth=1
                                        ; =>  This Inner Loop Header: Depth=2
	v_mov_b32_e32 v2, s18
	v_mov_b32_e32 v3, s19
	s_sleep 1
	global_store_dwordx2 v[9:10], v[4:5], off
	s_waitcnt_vscnt null, 0x0
	global_atomic_cmpswap_x2 v[2:3], v6, v[2:5], s[26:27] offset:32 glc
	s_waitcnt vmcnt(0)
	v_cmp_eq_u64_e32 vcc_lo, v[2:3], v[4:5]
	v_mov_b32_e32 v5, v3
	v_mov_b32_e32 v4, v2
	s_or_b32 s21, vcc_lo, s21
	s_andn2_b32 exec_lo, exec_lo, s21
	s_cbranch_execnz .LBB3_892
.LBB3_893:                              ;   in Loop: Header=BB3_832 Depth=1
	s_or_b32 exec_lo, exec_lo, s20
	global_load_dwordx2 v[2:3], v6, s[26:27] offset:16
	s_mov_b32 s21, exec_lo
	s_mov_b32 s20, exec_lo
	v_mbcnt_lo_u32_b32 v4, s21, 0
	v_cmpx_eq_u32_e32 0, v4
	s_cbranch_execz .LBB3_895
; %bb.894:                              ;   in Loop: Header=BB3_832 Depth=1
	s_bcnt1_i32_b32 s21, s21
	v_mov_b32_e32 v5, s21
	s_waitcnt vmcnt(0)
	global_atomic_add_x2 v[2:3], v[5:6], off offset:8
.LBB3_895:                              ;   in Loop: Header=BB3_832 Depth=1
	s_or_b32 exec_lo, exec_lo, s20
	s_waitcnt vmcnt(0)
	global_load_dwordx2 v[9:10], v[2:3], off offset:16
	s_waitcnt vmcnt(0)
	v_cmp_eq_u64_e32 vcc_lo, 0, v[9:10]
	s_cbranch_vccnz .LBB3_897
; %bb.896:                              ;   in Loop: Header=BB3_832 Depth=1
	global_load_dword v5, v[2:3], off offset:24
	s_waitcnt vmcnt(0)
	v_and_b32_e32 v2, 0x7fffff, v5
	s_waitcnt_vscnt null, 0x0
	global_store_dwordx2 v[9:10], v[5:6], off
	v_readfirstlane_b32 m0, v2
	s_sendmsg sendmsg(MSG_INTERRUPT)
.LBB3_897:                              ;   in Loop: Header=BB3_832 Depth=1
	s_or_b32 exec_lo, exec_lo, s5
	v_add_co_u32 v2, vcc_lo, v27, v36
	v_add_co_ci_u32_e32 v3, vcc_lo, 0, v28, vcc_lo
	s_branch .LBB3_901
	.p2align	6
.LBB3_898:                              ;   in Loop: Header=BB3_901 Depth=2
	s_or_b32 exec_lo, exec_lo, s5
	v_readfirstlane_b32 s5, v4
	s_cmp_eq_u32 s5, 0
	s_cbranch_scc1 .LBB3_900
; %bb.899:                              ;   in Loop: Header=BB3_901 Depth=2
	s_sleep 1
	s_cbranch_execnz .LBB3_901
	s_branch .LBB3_903
	.p2align	6
.LBB3_900:                              ;   in Loop: Header=BB3_832 Depth=1
	s_branch .LBB3_903
.LBB3_901:                              ;   Parent Loop BB3_832 Depth=1
                                        ; =>  This Inner Loop Header: Depth=2
	v_mov_b32_e32 v4, 1
	s_and_saveexec_b32 s5, s4
	s_cbranch_execz .LBB3_898
; %bb.902:                              ;   in Loop: Header=BB3_901 Depth=2
	global_load_dword v4, v[29:30], off offset:20 glc dlc
	s_waitcnt vmcnt(0)
	buffer_gl1_inv
	buffer_gl0_inv
	v_and_b32_e32 v4, 1, v4
	s_branch .LBB3_898
.LBB3_903:                              ;   in Loop: Header=BB3_832 Depth=1
	global_load_dwordx4 v[2:5], v[2:3], off
	s_and_saveexec_b32 s5, s4
	s_cbranch_execz .LBB3_831
; %bb.904:                              ;   in Loop: Header=BB3_832 Depth=1
	s_clause 0x2
	global_load_dwordx2 v[4:5], v6, s[26:27] offset:40
	global_load_dwordx2 v[13:14], v6, s[26:27] offset:24 glc dlc
	global_load_dwordx2 v[11:12], v6, s[26:27]
	s_waitcnt vmcnt(2)
	v_add_co_u32 v15, vcc_lo, v4, 1
	v_add_co_ci_u32_e32 v16, vcc_lo, 0, v5, vcc_lo
	v_add_co_u32 v9, vcc_lo, v15, s18
	v_add_co_ci_u32_e32 v10, vcc_lo, s19, v16, vcc_lo
	v_cmp_eq_u64_e32 vcc_lo, 0, v[9:10]
	v_cndmask_b32_e32 v10, v10, v16, vcc_lo
	v_cndmask_b32_e32 v9, v9, v15, vcc_lo
	v_and_b32_e32 v5, v10, v5
	v_and_b32_e32 v4, v9, v4
	v_mul_lo_u32 v5, v5, 24
	v_mul_hi_u32 v15, v4, 24
	v_mul_lo_u32 v4, v4, 24
	v_add_nc_u32_e32 v5, v15, v5
	s_waitcnt vmcnt(0)
	v_add_co_u32 v4, vcc_lo, v11, v4
	v_mov_b32_e32 v11, v13
	v_add_co_ci_u32_e32 v5, vcc_lo, v12, v5, vcc_lo
	v_mov_b32_e32 v12, v14
	global_store_dwordx2 v[4:5], v[13:14], off
	s_waitcnt_vscnt null, 0x0
	global_atomic_cmpswap_x2 v[11:12], v6, v[9:12], s[26:27] offset:24 glc
	s_waitcnt vmcnt(0)
	v_cmp_ne_u64_e32 vcc_lo, v[11:12], v[13:14]
	s_and_b32 exec_lo, exec_lo, vcc_lo
	s_cbranch_execz .LBB3_831
; %bb.905:                              ;   in Loop: Header=BB3_832 Depth=1
	s_mov_b32 s4, 0
.LBB3_906:                              ;   Parent Loop BB3_832 Depth=1
                                        ; =>  This Inner Loop Header: Depth=2
	s_sleep 1
	global_store_dwordx2 v[4:5], v[11:12], off
	s_waitcnt_vscnt null, 0x0
	global_atomic_cmpswap_x2 v[13:14], v6, v[9:12], s[26:27] offset:24 glc
	s_waitcnt vmcnt(0)
	v_cmp_eq_u64_e32 vcc_lo, v[13:14], v[11:12]
	v_mov_b32_e32 v11, v13
	v_mov_b32_e32 v12, v14
	s_or_b32 s4, vcc_lo, s4
	s_andn2_b32 exec_lo, exec_lo, s4
	s_cbranch_execnz .LBB3_906
	s_branch .LBB3_831
.LBB3_907:
	s_branch .LBB3_936
.LBB3_908:
                                        ; implicit-def: $vgpr2_vgpr3
	s_cbranch_execz .LBB3_936
; %bb.909:
	v_readfirstlane_b32 s4, v37
	v_mov_b32_e32 v8, 0
	v_mov_b32_e32 v9, 0
	v_cmp_eq_u32_e64 s4, s4, v37
	s_and_saveexec_b32 s5, s4
	s_cbranch_execz .LBB3_915
; %bb.910:
	s_waitcnt vmcnt(0)
	v_mov_b32_e32 v2, 0
	s_mov_b32 s8, exec_lo
	global_load_dwordx2 v[5:6], v2, s[26:27] offset:24 glc dlc
	s_waitcnt vmcnt(0)
	buffer_gl1_inv
	buffer_gl0_inv
	s_clause 0x1
	global_load_dwordx2 v[3:4], v2, s[26:27] offset:40
	global_load_dwordx2 v[7:8], v2, s[26:27]
	s_waitcnt vmcnt(1)
	v_and_b32_e32 v4, v4, v6
	v_and_b32_e32 v3, v3, v5
	v_mul_lo_u32 v4, v4, 24
	v_mul_hi_u32 v9, v3, 24
	v_mul_lo_u32 v3, v3, 24
	v_add_nc_u32_e32 v4, v9, v4
	s_waitcnt vmcnt(0)
	v_add_co_u32 v3, vcc_lo, v7, v3
	v_add_co_ci_u32_e32 v4, vcc_lo, v8, v4, vcc_lo
	global_load_dwordx2 v[3:4], v[3:4], off glc dlc
	s_waitcnt vmcnt(0)
	global_atomic_cmpswap_x2 v[8:9], v2, v[3:6], s[26:27] offset:24 glc
	s_waitcnt vmcnt(0)
	buffer_gl1_inv
	buffer_gl0_inv
	v_cmpx_ne_u64_e64 v[8:9], v[5:6]
	s_cbranch_execz .LBB3_914
; %bb.911:
	s_mov_b32 s9, 0
	.p2align	6
.LBB3_912:                              ; =>This Inner Loop Header: Depth=1
	s_sleep 1
	s_clause 0x1
	global_load_dwordx2 v[3:4], v2, s[26:27] offset:40
	global_load_dwordx2 v[10:11], v2, s[26:27]
	v_mov_b32_e32 v5, v8
	v_mov_b32_e32 v6, v9
	s_waitcnt vmcnt(1)
	v_and_b32_e32 v3, v3, v5
	v_and_b32_e32 v4, v4, v6
	s_waitcnt vmcnt(0)
	v_mad_u64_u32 v[7:8], null, v3, 24, v[10:11]
	v_mov_b32_e32 v3, v8
	v_mad_u64_u32 v[3:4], null, v4, 24, v[3:4]
	v_mov_b32_e32 v8, v3
	global_load_dwordx2 v[3:4], v[7:8], off glc dlc
	s_waitcnt vmcnt(0)
	global_atomic_cmpswap_x2 v[8:9], v2, v[3:6], s[26:27] offset:24 glc
	s_waitcnt vmcnt(0)
	buffer_gl1_inv
	buffer_gl0_inv
	v_cmp_eq_u64_e32 vcc_lo, v[8:9], v[5:6]
	s_or_b32 s9, vcc_lo, s9
	s_andn2_b32 exec_lo, exec_lo, s9
	s_cbranch_execnz .LBB3_912
; %bb.913:
	s_or_b32 exec_lo, exec_lo, s9
.LBB3_914:
	s_or_b32 exec_lo, exec_lo, s8
.LBB3_915:
	s_or_b32 exec_lo, exec_lo, s5
	s_waitcnt vmcnt(0)
	v_mov_b32_e32 v2, 0
	v_readfirstlane_b32 s8, v8
	v_readfirstlane_b32 s9, v9
	s_mov_b32 s5, exec_lo
	s_clause 0x1
	global_load_dwordx2 v[10:11], v2, s[26:27] offset:40
	global_load_dwordx4 v[4:7], v2, s[26:27]
	s_waitcnt vmcnt(1)
	v_readfirstlane_b32 s14, v10
	v_readfirstlane_b32 s15, v11
	s_and_b64 s[14:15], s[8:9], s[14:15]
	s_mul_i32 s16, s15, 24
	s_mul_hi_u32 s17, s14, 24
	s_mul_i32 s18, s14, 24
	s_add_i32 s17, s17, s16
	s_waitcnt vmcnt(0)
	v_add_co_u32 v8, vcc_lo, v4, s18
	v_add_co_ci_u32_e32 v9, vcc_lo, s17, v5, vcc_lo
	s_and_saveexec_b32 s16, s4
	s_cbranch_execz .LBB3_917
; %bb.916:
	v_mov_b32_e32 v10, s5
	v_mov_b32_e32 v11, v2
	;; [unrolled: 1-line block ×4, first 2 shown]
	global_store_dwordx4 v[8:9], v[10:13], off offset:8
.LBB3_917:
	s_or_b32 exec_lo, exec_lo, s16
	s_lshl_b64 s[14:15], s[14:15], 12
	s_mov_b32 s16, 0
	v_add_co_u32 v6, vcc_lo, v6, s14
	v_add_co_ci_u32_e32 v7, vcc_lo, s15, v7, vcc_lo
	s_mov_b32 s17, s16
	v_readfirstlane_b32 s14, v6
	v_add_co_u32 v6, vcc_lo, v6, v36
	s_mov_b32 s18, s16
	s_mov_b32 s19, s16
	v_and_or_b32 v0, 0xffffff1f, v0, 32
	v_mov_b32_e32 v3, v2
	v_readfirstlane_b32 s15, v7
	v_mov_b32_e32 v10, s16
	v_add_co_ci_u32_e32 v7, vcc_lo, 0, v7, vcc_lo
	v_mov_b32_e32 v11, s17
	v_mov_b32_e32 v12, s18
	;; [unrolled: 1-line block ×3, first 2 shown]
	global_store_dwordx4 v36, v[0:3], s[14:15]
	global_store_dwordx4 v36, v[10:13], s[14:15] offset:16
	global_store_dwordx4 v36, v[10:13], s[14:15] offset:32
	;; [unrolled: 1-line block ×3, first 2 shown]
	s_and_saveexec_b32 s5, s4
	s_cbranch_execz .LBB3_925
; %bb.918:
	v_mov_b32_e32 v10, 0
	v_mov_b32_e32 v11, s8
	;; [unrolled: 1-line block ×3, first 2 shown]
	s_clause 0x1
	global_load_dwordx2 v[13:14], v10, s[26:27] offset:32 glc dlc
	global_load_dwordx2 v[0:1], v10, s[26:27] offset:40
	s_waitcnt vmcnt(0)
	v_readfirstlane_b32 s14, v0
	v_readfirstlane_b32 s15, v1
	s_and_b64 s[14:15], s[14:15], s[8:9]
	s_mul_i32 s15, s15, 24
	s_mul_hi_u32 s16, s14, 24
	s_mul_i32 s14, s14, 24
	s_add_i32 s16, s16, s15
	v_add_co_u32 v4, vcc_lo, v4, s14
	v_add_co_ci_u32_e32 v5, vcc_lo, s16, v5, vcc_lo
	s_mov_b32 s14, exec_lo
	global_store_dwordx2 v[4:5], v[13:14], off
	s_waitcnt_vscnt null, 0x0
	global_atomic_cmpswap_x2 v[2:3], v10, v[11:14], s[26:27] offset:32 glc
	s_waitcnt vmcnt(0)
	v_cmpx_ne_u64_e64 v[2:3], v[13:14]
	s_cbranch_execz .LBB3_921
; %bb.919:
	s_mov_b32 s15, 0
.LBB3_920:                              ; =>This Inner Loop Header: Depth=1
	v_mov_b32_e32 v0, s8
	v_mov_b32_e32 v1, s9
	s_sleep 1
	global_store_dwordx2 v[4:5], v[2:3], off
	s_waitcnt_vscnt null, 0x0
	global_atomic_cmpswap_x2 v[0:1], v10, v[0:3], s[26:27] offset:32 glc
	s_waitcnt vmcnt(0)
	v_cmp_eq_u64_e32 vcc_lo, v[0:1], v[2:3]
	v_mov_b32_e32 v3, v1
	v_mov_b32_e32 v2, v0
	s_or_b32 s15, vcc_lo, s15
	s_andn2_b32 exec_lo, exec_lo, s15
	s_cbranch_execnz .LBB3_920
.LBB3_921:
	s_or_b32 exec_lo, exec_lo, s14
	v_mov_b32_e32 v3, 0
	s_mov_b32 s15, exec_lo
	s_mov_b32 s14, exec_lo
	v_mbcnt_lo_u32_b32 v2, s15, 0
	global_load_dwordx2 v[0:1], v3, s[26:27] offset:16
	v_cmpx_eq_u32_e32 0, v2
	s_cbranch_execz .LBB3_923
; %bb.922:
	s_bcnt1_i32_b32 s15, s15
	v_mov_b32_e32 v2, s15
	s_waitcnt vmcnt(0)
	global_atomic_add_x2 v[0:1], v[2:3], off offset:8
.LBB3_923:
	s_or_b32 exec_lo, exec_lo, s14
	s_waitcnt vmcnt(0)
	global_load_dwordx2 v[2:3], v[0:1], off offset:16
	s_waitcnt vmcnt(0)
	v_cmp_eq_u64_e32 vcc_lo, 0, v[2:3]
	s_cbranch_vccnz .LBB3_925
; %bb.924:
	global_load_dword v0, v[0:1], off offset:24
	v_mov_b32_e32 v1, 0
	s_waitcnt vmcnt(0)
	v_and_b32_e32 v4, 0x7fffff, v0
	s_waitcnt_vscnt null, 0x0
	global_store_dwordx2 v[2:3], v[0:1], off
	v_readfirstlane_b32 m0, v4
	s_sendmsg sendmsg(MSG_INTERRUPT)
.LBB3_925:
	s_or_b32 exec_lo, exec_lo, s5
	s_branch .LBB3_929
	.p2align	6
.LBB3_926:                              ;   in Loop: Header=BB3_929 Depth=1
	s_or_b32 exec_lo, exec_lo, s5
	v_readfirstlane_b32 s5, v0
	s_cmp_eq_u32 s5, 0
	s_cbranch_scc1 .LBB3_928
; %bb.927:                              ;   in Loop: Header=BB3_929 Depth=1
	s_sleep 1
	s_cbranch_execnz .LBB3_929
	s_branch .LBB3_931
	.p2align	6
.LBB3_928:
	s_branch .LBB3_931
.LBB3_929:                              ; =>This Inner Loop Header: Depth=1
	v_mov_b32_e32 v0, 1
	s_and_saveexec_b32 s5, s4
	s_cbranch_execz .LBB3_926
; %bb.930:                              ;   in Loop: Header=BB3_929 Depth=1
	global_load_dword v0, v[8:9], off offset:20 glc dlc
	s_waitcnt vmcnt(0)
	buffer_gl1_inv
	buffer_gl0_inv
	v_and_b32_e32 v0, 1, v0
	s_branch .LBB3_926
.LBB3_931:
	global_load_dwordx2 v[2:3], v[6:7], off
	s_and_saveexec_b32 s5, s4
	s_cbranch_execz .LBB3_935
; %bb.932:
	v_mov_b32_e32 v8, 0
	s_clause 0x2
	global_load_dwordx2 v[0:1], v8, s[26:27] offset:40
	global_load_dwordx2 v[9:10], v8, s[26:27] offset:24 glc dlc
	global_load_dwordx2 v[6:7], v8, s[26:27]
	s_waitcnt vmcnt(2)
	v_add_co_u32 v11, vcc_lo, v0, 1
	v_add_co_ci_u32_e32 v12, vcc_lo, 0, v1, vcc_lo
	v_add_co_u32 v4, vcc_lo, v11, s8
	v_add_co_ci_u32_e32 v5, vcc_lo, s9, v12, vcc_lo
	v_cmp_eq_u64_e32 vcc_lo, 0, v[4:5]
	v_cndmask_b32_e32 v5, v5, v12, vcc_lo
	v_cndmask_b32_e32 v4, v4, v11, vcc_lo
	v_and_b32_e32 v1, v5, v1
	v_and_b32_e32 v0, v4, v0
	v_mul_lo_u32 v1, v1, 24
	v_mul_hi_u32 v11, v0, 24
	v_mul_lo_u32 v0, v0, 24
	v_add_nc_u32_e32 v1, v11, v1
	s_waitcnt vmcnt(0)
	v_add_co_u32 v0, vcc_lo, v6, v0
	v_mov_b32_e32 v6, v9
	v_add_co_ci_u32_e32 v1, vcc_lo, v7, v1, vcc_lo
	v_mov_b32_e32 v7, v10
	global_store_dwordx2 v[0:1], v[9:10], off
	s_waitcnt_vscnt null, 0x0
	global_atomic_cmpswap_x2 v[6:7], v8, v[4:7], s[26:27] offset:24 glc
	s_waitcnt vmcnt(0)
	v_cmp_ne_u64_e32 vcc_lo, v[6:7], v[9:10]
	s_and_b32 exec_lo, exec_lo, vcc_lo
	s_cbranch_execz .LBB3_935
; %bb.933:
	s_mov_b32 s4, 0
.LBB3_934:                              ; =>This Inner Loop Header: Depth=1
	s_sleep 1
	global_store_dwordx2 v[0:1], v[6:7], off
	s_waitcnt_vscnt null, 0x0
	global_atomic_cmpswap_x2 v[9:10], v8, v[4:7], s[26:27] offset:24 glc
	s_waitcnt vmcnt(0)
	v_cmp_eq_u64_e32 vcc_lo, v[9:10], v[6:7]
	v_mov_b32_e32 v6, v9
	v_mov_b32_e32 v7, v10
	s_or_b32 s4, vcc_lo, s4
	s_andn2_b32 exec_lo, exec_lo, s4
	s_cbranch_execnz .LBB3_934
.LBB3_935:
	s_or_b32 exec_lo, exec_lo, s5
.LBB3_936:
	v_readfirstlane_b32 s4, v37
	s_waitcnt vmcnt(0)
	v_mov_b32_e32 v0, 0
	v_mov_b32_e32 v1, 0
	v_cmp_eq_u32_e64 s4, s4, v37
	s_and_saveexec_b32 s5, s4
	s_cbranch_execz .LBB3_942
; %bb.937:
	v_mov_b32_e32 v4, 0
	s_mov_b32 s8, exec_lo
	global_load_dwordx2 v[7:8], v4, s[26:27] offset:24 glc dlc
	s_waitcnt vmcnt(0)
	buffer_gl1_inv
	buffer_gl0_inv
	s_clause 0x1
	global_load_dwordx2 v[0:1], v4, s[26:27] offset:40
	global_load_dwordx2 v[5:6], v4, s[26:27]
	s_waitcnt vmcnt(1)
	v_and_b32_e32 v1, v1, v8
	v_and_b32_e32 v0, v0, v7
	v_mul_lo_u32 v1, v1, 24
	v_mul_hi_u32 v9, v0, 24
	v_mul_lo_u32 v0, v0, 24
	v_add_nc_u32_e32 v1, v9, v1
	s_waitcnt vmcnt(0)
	v_add_co_u32 v0, vcc_lo, v5, v0
	v_add_co_ci_u32_e32 v1, vcc_lo, v6, v1, vcc_lo
	global_load_dwordx2 v[5:6], v[0:1], off glc dlc
	s_waitcnt vmcnt(0)
	global_atomic_cmpswap_x2 v[0:1], v4, v[5:8], s[26:27] offset:24 glc
	s_waitcnt vmcnt(0)
	buffer_gl1_inv
	buffer_gl0_inv
	v_cmpx_ne_u64_e64 v[0:1], v[7:8]
	s_cbranch_execz .LBB3_941
; %bb.938:
	s_mov_b32 s9, 0
	.p2align	6
.LBB3_939:                              ; =>This Inner Loop Header: Depth=1
	s_sleep 1
	s_clause 0x1
	global_load_dwordx2 v[5:6], v4, s[26:27] offset:40
	global_load_dwordx2 v[9:10], v4, s[26:27]
	v_mov_b32_e32 v8, v1
	v_mov_b32_e32 v7, v0
	s_waitcnt vmcnt(1)
	v_and_b32_e32 v0, v5, v7
	v_and_b32_e32 v5, v6, v8
	s_waitcnt vmcnt(0)
	v_mad_u64_u32 v[0:1], null, v0, 24, v[9:10]
	v_mad_u64_u32 v[5:6], null, v5, 24, v[1:2]
	v_mov_b32_e32 v1, v5
	global_load_dwordx2 v[5:6], v[0:1], off glc dlc
	s_waitcnt vmcnt(0)
	global_atomic_cmpswap_x2 v[0:1], v4, v[5:8], s[26:27] offset:24 glc
	s_waitcnt vmcnt(0)
	buffer_gl1_inv
	buffer_gl0_inv
	v_cmp_eq_u64_e32 vcc_lo, v[0:1], v[7:8]
	s_or_b32 s9, vcc_lo, s9
	s_andn2_b32 exec_lo, exec_lo, s9
	s_cbranch_execnz .LBB3_939
; %bb.940:
	s_or_b32 exec_lo, exec_lo, s9
.LBB3_941:
	s_or_b32 exec_lo, exec_lo, s8
.LBB3_942:
	s_or_b32 exec_lo, exec_lo, s5
	v_mov_b32_e32 v5, 0
	v_readfirstlane_b32 s8, v0
	v_readfirstlane_b32 s9, v1
	s_mov_b32 s5, exec_lo
	s_clause 0x1
	global_load_dwordx2 v[10:11], v5, s[26:27] offset:40
	global_load_dwordx4 v[6:9], v5, s[26:27]
	s_waitcnt vmcnt(1)
	v_readfirstlane_b32 s14, v10
	v_readfirstlane_b32 s15, v11
	s_and_b64 s[14:15], s[8:9], s[14:15]
	s_mul_i32 s16, s15, 24
	s_mul_hi_u32 s17, s14, 24
	s_mul_i32 s18, s14, 24
	s_add_i32 s17, s17, s16
	s_waitcnt vmcnt(0)
	v_add_co_u32 v10, vcc_lo, v6, s18
	v_add_co_ci_u32_e32 v11, vcc_lo, s17, v7, vcc_lo
	s_and_saveexec_b32 s16, s4
	s_cbranch_execz .LBB3_944
; %bb.943:
	v_mov_b32_e32 v4, s5
	v_mov_b32_e32 v13, v5
	;; [unrolled: 1-line block ×5, first 2 shown]
	global_store_dwordx4 v[10:11], v[12:15], off offset:8
.LBB3_944:
	s_or_b32 exec_lo, exec_lo, s16
	s_lshl_b64 s[14:15], s[14:15], 12
	s_mov_b32 s16, 0
	v_add_co_u32 v0, vcc_lo, v8, s14
	v_add_co_ci_u32_e32 v1, vcc_lo, s15, v9, vcc_lo
	s_mov_b32 s17, s16
	s_mov_b32 s18, s16
	;; [unrolled: 1-line block ×3, first 2 shown]
	v_and_or_b32 v2, 0xffffff1d, v2, 34
	v_mov_b32_e32 v4, 0x257
	v_readfirstlane_b32 s14, v0
	v_readfirstlane_b32 s15, v1
	v_mov_b32_e32 v12, s16
	v_mov_b32_e32 v13, s17
	v_mov_b32_e32 v14, s18
	v_mov_b32_e32 v15, s19
	global_store_dwordx4 v36, v[2:5], s[14:15]
	global_store_dwordx4 v36, v[12:15], s[14:15] offset:16
	global_store_dwordx4 v36, v[12:15], s[14:15] offset:32
	;; [unrolled: 1-line block ×3, first 2 shown]
	s_and_saveexec_b32 s5, s4
	s_cbranch_execz .LBB3_952
; %bb.945:
	v_mov_b32_e32 v8, 0
	v_mov_b32_e32 v12, s8
	;; [unrolled: 1-line block ×3, first 2 shown]
	s_clause 0x1
	global_load_dwordx2 v[14:15], v8, s[26:27] offset:32 glc dlc
	global_load_dwordx2 v[0:1], v8, s[26:27] offset:40
	s_waitcnt vmcnt(0)
	v_readfirstlane_b32 s14, v0
	v_readfirstlane_b32 s15, v1
	s_and_b64 s[14:15], s[14:15], s[8:9]
	s_mul_i32 s15, s15, 24
	s_mul_hi_u32 s16, s14, 24
	s_mul_i32 s14, s14, 24
	s_add_i32 s16, s16, s15
	v_add_co_u32 v4, vcc_lo, v6, s14
	v_add_co_ci_u32_e32 v5, vcc_lo, s16, v7, vcc_lo
	s_mov_b32 s14, exec_lo
	global_store_dwordx2 v[4:5], v[14:15], off
	s_waitcnt_vscnt null, 0x0
	global_atomic_cmpswap_x2 v[2:3], v8, v[12:15], s[26:27] offset:32 glc
	s_waitcnt vmcnt(0)
	v_cmpx_ne_u64_e64 v[2:3], v[14:15]
	s_cbranch_execz .LBB3_948
; %bb.946:
	s_mov_b32 s15, 0
.LBB3_947:                              ; =>This Inner Loop Header: Depth=1
	v_mov_b32_e32 v0, s8
	v_mov_b32_e32 v1, s9
	s_sleep 1
	global_store_dwordx2 v[4:5], v[2:3], off
	s_waitcnt_vscnt null, 0x0
	global_atomic_cmpswap_x2 v[0:1], v8, v[0:3], s[26:27] offset:32 glc
	s_waitcnt vmcnt(0)
	v_cmp_eq_u64_e32 vcc_lo, v[0:1], v[2:3]
	v_mov_b32_e32 v3, v1
	v_mov_b32_e32 v2, v0
	s_or_b32 s15, vcc_lo, s15
	s_andn2_b32 exec_lo, exec_lo, s15
	s_cbranch_execnz .LBB3_947
.LBB3_948:
	s_or_b32 exec_lo, exec_lo, s14
	v_mov_b32_e32 v3, 0
	s_mov_b32 s15, exec_lo
	s_mov_b32 s14, exec_lo
	v_mbcnt_lo_u32_b32 v2, s15, 0
	global_load_dwordx2 v[0:1], v3, s[26:27] offset:16
	v_cmpx_eq_u32_e32 0, v2
	s_cbranch_execz .LBB3_950
; %bb.949:
	s_bcnt1_i32_b32 s15, s15
	v_mov_b32_e32 v2, s15
	s_waitcnt vmcnt(0)
	global_atomic_add_x2 v[0:1], v[2:3], off offset:8
.LBB3_950:
	s_or_b32 exec_lo, exec_lo, s14
	s_waitcnt vmcnt(0)
	global_load_dwordx2 v[2:3], v[0:1], off offset:16
	s_waitcnt vmcnt(0)
	v_cmp_eq_u64_e32 vcc_lo, 0, v[2:3]
	s_cbranch_vccnz .LBB3_952
; %bb.951:
	global_load_dword v0, v[0:1], off offset:24
	v_mov_b32_e32 v1, 0
	s_waitcnt vmcnt(0)
	v_and_b32_e32 v4, 0x7fffff, v0
	s_waitcnt_vscnt null, 0x0
	global_store_dwordx2 v[2:3], v[0:1], off
	v_readfirstlane_b32 m0, v4
	s_sendmsg sendmsg(MSG_INTERRUPT)
.LBB3_952:
	s_or_b32 exec_lo, exec_lo, s5
	s_branch .LBB3_956
	.p2align	6
.LBB3_953:                              ;   in Loop: Header=BB3_956 Depth=1
	s_or_b32 exec_lo, exec_lo, s5
	v_readfirstlane_b32 s5, v0
	s_cmp_eq_u32 s5, 0
	s_cbranch_scc1 .LBB3_955
; %bb.954:                              ;   in Loop: Header=BB3_956 Depth=1
	s_sleep 1
	s_cbranch_execnz .LBB3_956
	s_branch .LBB3_958
	.p2align	6
.LBB3_955:
	s_branch .LBB3_958
.LBB3_956:                              ; =>This Inner Loop Header: Depth=1
	v_mov_b32_e32 v0, 1
	s_and_saveexec_b32 s5, s4
	s_cbranch_execz .LBB3_953
; %bb.957:                              ;   in Loop: Header=BB3_956 Depth=1
	global_load_dword v0, v[10:11], off offset:20 glc dlc
	s_waitcnt vmcnt(0)
	buffer_gl1_inv
	buffer_gl0_inv
	v_and_b32_e32 v0, 1, v0
	s_branch .LBB3_953
.LBB3_958:
	s_and_saveexec_b32 s5, s4
	s_cbranch_execz .LBB3_962
; %bb.959:
	v_mov_b32_e32 v6, 0
	s_clause 0x2
	global_load_dwordx2 v[2:3], v6, s[26:27] offset:40
	global_load_dwordx2 v[7:8], v6, s[26:27] offset:24 glc dlc
	global_load_dwordx2 v[4:5], v6, s[26:27]
	s_waitcnt vmcnt(2)
	v_add_co_u32 v9, vcc_lo, v2, 1
	v_add_co_ci_u32_e32 v10, vcc_lo, 0, v3, vcc_lo
	v_add_co_u32 v0, vcc_lo, v9, s8
	v_add_co_ci_u32_e32 v1, vcc_lo, s9, v10, vcc_lo
	v_cmp_eq_u64_e32 vcc_lo, 0, v[0:1]
	v_cndmask_b32_e32 v1, v1, v10, vcc_lo
	v_cndmask_b32_e32 v0, v0, v9, vcc_lo
	v_and_b32_e32 v3, v1, v3
	v_and_b32_e32 v2, v0, v2
	v_mul_lo_u32 v3, v3, 24
	v_mul_hi_u32 v9, v2, 24
	v_mul_lo_u32 v2, v2, 24
	v_add_nc_u32_e32 v3, v9, v3
	s_waitcnt vmcnt(0)
	v_add_co_u32 v4, vcc_lo, v4, v2
	v_mov_b32_e32 v2, v7
	v_add_co_ci_u32_e32 v5, vcc_lo, v5, v3, vcc_lo
	v_mov_b32_e32 v3, v8
	global_store_dwordx2 v[4:5], v[7:8], off
	s_waitcnt_vscnt null, 0x0
	global_atomic_cmpswap_x2 v[2:3], v6, v[0:3], s[26:27] offset:24 glc
	s_waitcnt vmcnt(0)
	v_cmp_ne_u64_e32 vcc_lo, v[2:3], v[7:8]
	s_and_b32 exec_lo, exec_lo, vcc_lo
	s_cbranch_execz .LBB3_962
; %bb.960:
	s_mov_b32 s4, 0
.LBB3_961:                              ; =>This Inner Loop Header: Depth=1
	s_sleep 1
	global_store_dwordx2 v[4:5], v[2:3], off
	s_waitcnt_vscnt null, 0x0
	global_atomic_cmpswap_x2 v[7:8], v6, v[0:3], s[26:27] offset:24 glc
	s_waitcnt vmcnt(0)
	v_cmp_eq_u64_e32 vcc_lo, v[7:8], v[2:3]
	v_mov_b32_e32 v2, v7
	v_mov_b32_e32 v3, v8
	s_or_b32 s4, vcc_lo, s4
	s_andn2_b32 exec_lo, exec_lo, s4
	s_cbranch_execnz .LBB3_961
.LBB3_962:
	s_or_b32 exec_lo, exec_lo, s5
	v_readfirstlane_b32 s4, v37
	v_mov_b32_e32 v6, 0
	v_mov_b32_e32 v7, 0
	v_cmp_eq_u32_e64 s4, s4, v37
	s_and_saveexec_b32 s5, s4
	s_cbranch_execz .LBB3_968
; %bb.963:
	v_mov_b32_e32 v0, 0
	s_mov_b32 s8, exec_lo
	global_load_dwordx2 v[3:4], v0, s[26:27] offset:24 glc dlc
	s_waitcnt vmcnt(0)
	buffer_gl1_inv
	buffer_gl0_inv
	s_clause 0x1
	global_load_dwordx2 v[1:2], v0, s[26:27] offset:40
	global_load_dwordx2 v[5:6], v0, s[26:27]
	s_waitcnt vmcnt(1)
	v_and_b32_e32 v2, v2, v4
	v_and_b32_e32 v1, v1, v3
	v_mul_lo_u32 v2, v2, 24
	v_mul_hi_u32 v7, v1, 24
	v_mul_lo_u32 v1, v1, 24
	v_add_nc_u32_e32 v2, v7, v2
	s_waitcnt vmcnt(0)
	v_add_co_u32 v1, vcc_lo, v5, v1
	v_add_co_ci_u32_e32 v2, vcc_lo, v6, v2, vcc_lo
	global_load_dwordx2 v[1:2], v[1:2], off glc dlc
	s_waitcnt vmcnt(0)
	global_atomic_cmpswap_x2 v[6:7], v0, v[1:4], s[26:27] offset:24 glc
	s_waitcnt vmcnt(0)
	buffer_gl1_inv
	buffer_gl0_inv
	v_cmpx_ne_u64_e64 v[6:7], v[3:4]
	s_cbranch_execz .LBB3_967
; %bb.964:
	s_mov_b32 s9, 0
	.p2align	6
.LBB3_965:                              ; =>This Inner Loop Header: Depth=1
	s_sleep 1
	s_clause 0x1
	global_load_dwordx2 v[1:2], v0, s[26:27] offset:40
	global_load_dwordx2 v[8:9], v0, s[26:27]
	v_mov_b32_e32 v3, v6
	v_mov_b32_e32 v4, v7
	s_waitcnt vmcnt(1)
	v_and_b32_e32 v1, v1, v3
	v_and_b32_e32 v2, v2, v4
	s_waitcnt vmcnt(0)
	v_mad_u64_u32 v[5:6], null, v1, 24, v[8:9]
	v_mov_b32_e32 v1, v6
	v_mad_u64_u32 v[1:2], null, v2, 24, v[1:2]
	v_mov_b32_e32 v6, v1
	global_load_dwordx2 v[1:2], v[5:6], off glc dlc
	s_waitcnt vmcnt(0)
	global_atomic_cmpswap_x2 v[6:7], v0, v[1:4], s[26:27] offset:24 glc
	s_waitcnt vmcnt(0)
	buffer_gl1_inv
	buffer_gl0_inv
	v_cmp_eq_u64_e32 vcc_lo, v[6:7], v[3:4]
	s_or_b32 s9, vcc_lo, s9
	s_andn2_b32 exec_lo, exec_lo, s9
	s_cbranch_execnz .LBB3_965
; %bb.966:
	s_or_b32 exec_lo, exec_lo, s9
.LBB3_967:
	s_or_b32 exec_lo, exec_lo, s8
.LBB3_968:
	s_or_b32 exec_lo, exec_lo, s5
	v_mov_b32_e32 v5, 0
	v_readfirstlane_b32 s8, v6
	v_readfirstlane_b32 s9, v7
	s_mov_b32 s5, exec_lo
	s_clause 0x1
	global_load_dwordx2 v[8:9], v5, s[26:27] offset:40
	global_load_dwordx4 v[0:3], v5, s[26:27]
	s_waitcnt vmcnt(1)
	v_readfirstlane_b32 s14, v8
	v_readfirstlane_b32 s15, v9
	s_and_b64 s[14:15], s[8:9], s[14:15]
	s_mul_i32 s16, s15, 24
	s_mul_hi_u32 s17, s14, 24
	s_mul_i32 s18, s14, 24
	s_add_i32 s17, s17, s16
	s_waitcnt vmcnt(0)
	v_add_co_u32 v8, vcc_lo, v0, s18
	v_add_co_ci_u32_e32 v9, vcc_lo, s17, v1, vcc_lo
	s_and_saveexec_b32 s16, s4
	s_cbranch_execz .LBB3_970
; %bb.969:
	v_mov_b32_e32 v4, s5
	v_mov_b32_e32 v6, 2
	v_mov_b32_e32 v7, 1
	global_store_dwordx4 v[8:9], v[4:7], off offset:8
.LBB3_970:
	s_or_b32 exec_lo, exec_lo, s16
	s_lshl_b64 s[14:15], s[14:15], 12
	s_mov_b32 s16, 0
	v_add_co_u32 v2, vcc_lo, v2, s14
	v_add_co_ci_u32_e32 v3, vcc_lo, s15, v3, vcc_lo
	s_mov_b32 s17, s16
	v_add_co_u32 v10, vcc_lo, v2, v36
	s_mov_b32 s18, s16
	s_mov_b32 s19, s16
	v_mov_b32_e32 v4, 33
	v_mov_b32_e32 v6, v5
	;; [unrolled: 1-line block ×3, first 2 shown]
	v_readfirstlane_b32 s14, v2
	v_readfirstlane_b32 s15, v3
	v_mov_b32_e32 v12, s16
	v_add_co_ci_u32_e32 v11, vcc_lo, 0, v3, vcc_lo
	v_mov_b32_e32 v13, s17
	v_mov_b32_e32 v14, s18
	;; [unrolled: 1-line block ×3, first 2 shown]
	global_store_dwordx4 v36, v[4:7], s[14:15]
	global_store_dwordx4 v36, v[12:15], s[14:15] offset:16
	global_store_dwordx4 v36, v[12:15], s[14:15] offset:32
	;; [unrolled: 1-line block ×3, first 2 shown]
	s_and_saveexec_b32 s5, s4
	s_cbranch_execz .LBB3_978
; %bb.971:
	v_mov_b32_e32 v6, 0
	v_mov_b32_e32 v12, s8
	;; [unrolled: 1-line block ×3, first 2 shown]
	s_clause 0x1
	global_load_dwordx2 v[14:15], v6, s[26:27] offset:32 glc dlc
	global_load_dwordx2 v[2:3], v6, s[26:27] offset:40
	s_waitcnt vmcnt(0)
	v_readfirstlane_b32 s14, v2
	v_readfirstlane_b32 s15, v3
	s_and_b64 s[14:15], s[14:15], s[8:9]
	s_mul_i32 s15, s15, 24
	s_mul_hi_u32 s16, s14, 24
	s_mul_i32 s14, s14, 24
	s_add_i32 s16, s16, s15
	v_add_co_u32 v4, vcc_lo, v0, s14
	v_add_co_ci_u32_e32 v5, vcc_lo, s16, v1, vcc_lo
	s_mov_b32 s14, exec_lo
	global_store_dwordx2 v[4:5], v[14:15], off
	s_waitcnt_vscnt null, 0x0
	global_atomic_cmpswap_x2 v[2:3], v6, v[12:15], s[26:27] offset:32 glc
	s_waitcnt vmcnt(0)
	v_cmpx_ne_u64_e64 v[2:3], v[14:15]
	s_cbranch_execz .LBB3_974
; %bb.972:
	s_mov_b32 s15, 0
.LBB3_973:                              ; =>This Inner Loop Header: Depth=1
	v_mov_b32_e32 v0, s8
	v_mov_b32_e32 v1, s9
	s_sleep 1
	global_store_dwordx2 v[4:5], v[2:3], off
	s_waitcnt_vscnt null, 0x0
	global_atomic_cmpswap_x2 v[0:1], v6, v[0:3], s[26:27] offset:32 glc
	s_waitcnt vmcnt(0)
	v_cmp_eq_u64_e32 vcc_lo, v[0:1], v[2:3]
	v_mov_b32_e32 v3, v1
	v_mov_b32_e32 v2, v0
	s_or_b32 s15, vcc_lo, s15
	s_andn2_b32 exec_lo, exec_lo, s15
	s_cbranch_execnz .LBB3_973
.LBB3_974:
	s_or_b32 exec_lo, exec_lo, s14
	v_mov_b32_e32 v3, 0
	s_mov_b32 s15, exec_lo
	s_mov_b32 s14, exec_lo
	v_mbcnt_lo_u32_b32 v2, s15, 0
	global_load_dwordx2 v[0:1], v3, s[26:27] offset:16
	v_cmpx_eq_u32_e32 0, v2
	s_cbranch_execz .LBB3_976
; %bb.975:
	s_bcnt1_i32_b32 s15, s15
	v_mov_b32_e32 v2, s15
	s_waitcnt vmcnt(0)
	global_atomic_add_x2 v[0:1], v[2:3], off offset:8
.LBB3_976:
	s_or_b32 exec_lo, exec_lo, s14
	s_waitcnt vmcnt(0)
	global_load_dwordx2 v[2:3], v[0:1], off offset:16
	s_waitcnt vmcnt(0)
	v_cmp_eq_u64_e32 vcc_lo, 0, v[2:3]
	s_cbranch_vccnz .LBB3_978
; %bb.977:
	global_load_dword v0, v[0:1], off offset:24
	v_mov_b32_e32 v1, 0
	s_waitcnt vmcnt(0)
	v_and_b32_e32 v4, 0x7fffff, v0
	s_waitcnt_vscnt null, 0x0
	global_store_dwordx2 v[2:3], v[0:1], off
	v_readfirstlane_b32 m0, v4
	s_sendmsg sendmsg(MSG_INTERRUPT)
.LBB3_978:
	s_or_b32 exec_lo, exec_lo, s5
	s_branch .LBB3_982
	.p2align	6
.LBB3_979:                              ;   in Loop: Header=BB3_982 Depth=1
	s_or_b32 exec_lo, exec_lo, s5
	v_readfirstlane_b32 s5, v0
	s_cmp_eq_u32 s5, 0
	s_cbranch_scc1 .LBB3_981
; %bb.980:                              ;   in Loop: Header=BB3_982 Depth=1
	s_sleep 1
	s_cbranch_execnz .LBB3_982
	s_branch .LBB3_984
	.p2align	6
.LBB3_981:
	s_branch .LBB3_984
.LBB3_982:                              ; =>This Inner Loop Header: Depth=1
	v_mov_b32_e32 v0, 1
	s_and_saveexec_b32 s5, s4
	s_cbranch_execz .LBB3_979
; %bb.983:                              ;   in Loop: Header=BB3_982 Depth=1
	global_load_dword v0, v[8:9], off offset:20 glc dlc
	s_waitcnt vmcnt(0)
	buffer_gl1_inv
	buffer_gl0_inv
	v_and_b32_e32 v0, 1, v0
	s_branch .LBB3_979
.LBB3_984:
	global_load_dwordx2 v[0:1], v[10:11], off
	s_and_saveexec_b32 s5, s4
	s_cbranch_execz .LBB3_988
; %bb.985:
	v_mov_b32_e32 v8, 0
	s_clause 0x2
	global_load_dwordx2 v[4:5], v8, s[26:27] offset:40
	global_load_dwordx2 v[9:10], v8, s[26:27] offset:24 glc dlc
	global_load_dwordx2 v[6:7], v8, s[26:27]
	s_waitcnt vmcnt(2)
	v_add_co_u32 v11, vcc_lo, v4, 1
	v_add_co_ci_u32_e32 v12, vcc_lo, 0, v5, vcc_lo
	v_add_co_u32 v2, vcc_lo, v11, s8
	v_add_co_ci_u32_e32 v3, vcc_lo, s9, v12, vcc_lo
	v_cmp_eq_u64_e32 vcc_lo, 0, v[2:3]
	v_cndmask_b32_e32 v3, v3, v12, vcc_lo
	v_cndmask_b32_e32 v2, v2, v11, vcc_lo
	v_and_b32_e32 v5, v3, v5
	v_and_b32_e32 v4, v2, v4
	v_mul_lo_u32 v5, v5, 24
	v_mul_hi_u32 v11, v4, 24
	v_mul_lo_u32 v4, v4, 24
	v_add_nc_u32_e32 v5, v11, v5
	s_waitcnt vmcnt(0)
	v_add_co_u32 v6, vcc_lo, v6, v4
	v_mov_b32_e32 v4, v9
	v_add_co_ci_u32_e32 v7, vcc_lo, v7, v5, vcc_lo
	v_mov_b32_e32 v5, v10
	global_store_dwordx2 v[6:7], v[9:10], off
	s_waitcnt_vscnt null, 0x0
	global_atomic_cmpswap_x2 v[4:5], v8, v[2:5], s[26:27] offset:24 glc
	s_waitcnt vmcnt(0)
	v_cmp_ne_u64_e32 vcc_lo, v[4:5], v[9:10]
	s_and_b32 exec_lo, exec_lo, vcc_lo
	s_cbranch_execz .LBB3_988
; %bb.986:
	s_mov_b32 s4, 0
.LBB3_987:                              ; =>This Inner Loop Header: Depth=1
	s_sleep 1
	global_store_dwordx2 v[6:7], v[4:5], off
	s_waitcnt_vscnt null, 0x0
	global_atomic_cmpswap_x2 v[9:10], v8, v[2:5], s[26:27] offset:24 glc
	s_waitcnt vmcnt(0)
	v_cmp_eq_u64_e32 vcc_lo, v[9:10], v[4:5]
	v_mov_b32_e32 v4, v9
	v_mov_b32_e32 v5, v10
	s_or_b32 s4, vcc_lo, s4
	s_andn2_b32 exec_lo, exec_lo, s4
	s_cbranch_execnz .LBB3_987
.LBB3_988:
	s_or_b32 exec_lo, exec_lo, s5
	s_and_b32 vcc_lo, exec_lo, s35
	s_cbranch_vccz .LBB3_1067
; %bb.989:
	s_waitcnt vmcnt(0)
	v_and_b32_e32 v31, 2, v0
	v_mov_b32_e32 v6, 0
	v_and_b32_e32 v2, -3, v0
	v_mov_b32_e32 v3, v1
	v_mov_b32_e32 v7, 2
	;; [unrolled: 1-line block ×3, first 2 shown]
	s_mov_b64 s[14:15], 3
	s_getpc_b64 s[8:9]
	s_add_u32 s8, s8, .str.6@rel32@lo+4
	s_addc_u32 s9, s9, .str.6@rel32@hi+12
	s_branch .LBB3_991
.LBB3_990:                              ;   in Loop: Header=BB3_991 Depth=1
	s_or_b32 exec_lo, exec_lo, s5
	s_sub_u32 s14, s14, s16
	s_subb_u32 s15, s15, s17
	s_add_u32 s8, s8, s16
	s_addc_u32 s9, s9, s17
	s_cmp_lg_u64 s[14:15], 0
	s_cbranch_scc0 .LBB3_1066
.LBB3_991:                              ; =>This Loop Header: Depth=1
                                        ;     Child Loop BB3_1000 Depth 2
                                        ;     Child Loop BB3_996 Depth 2
	;; [unrolled: 1-line block ×11, first 2 shown]
	v_cmp_lt_u64_e64 s4, s[14:15], 56
	v_cmp_gt_u64_e64 s5, s[14:15], 7
                                        ; implicit-def: $vgpr11_vgpr12
                                        ; implicit-def: $sgpr23
	s_and_b32 s4, s4, exec_lo
	s_cselect_b32 s17, s15, 0
	s_cselect_b32 s16, s14, 56
	s_and_b32 vcc_lo, exec_lo, s5
	s_mov_b32 s4, -1
	s_cbranch_vccz .LBB3_998
; %bb.992:                              ;   in Loop: Header=BB3_991 Depth=1
	s_andn2_b32 vcc_lo, exec_lo, s4
	s_mov_b64 s[4:5], s[8:9]
	s_cbranch_vccz .LBB3_1002
.LBB3_993:                              ;   in Loop: Header=BB3_991 Depth=1
	s_cmp_gt_u32 s23, 7
	s_cbranch_scc1 .LBB3_1003
.LBB3_994:                              ;   in Loop: Header=BB3_991 Depth=1
	v_mov_b32_e32 v13, 0
	v_mov_b32_e32 v14, 0
	s_cmp_eq_u32 s23, 0
	s_cbranch_scc1 .LBB3_997
; %bb.995:                              ;   in Loop: Header=BB3_991 Depth=1
	s_mov_b64 s[18:19], 0
	s_mov_b64 s[20:21], 0
.LBB3_996:                              ;   Parent Loop BB3_991 Depth=1
                                        ; =>  This Inner Loop Header: Depth=2
	s_add_u32 s24, s4, s20
	s_addc_u32 s25, s5, s21
	s_add_u32 s20, s20, 1
	global_load_ubyte v4, v6, s[24:25]
	s_addc_u32 s21, s21, 0
	s_waitcnt vmcnt(0)
	v_and_b32_e32 v5, 0xffff, v4
	v_lshlrev_b64 v[4:5], s18, v[5:6]
	s_add_u32 s18, s18, 8
	s_addc_u32 s19, s19, 0
	s_cmp_lg_u32 s23, s20
	v_or_b32_e32 v13, v4, v13
	v_or_b32_e32 v14, v5, v14
	s_cbranch_scc1 .LBB3_996
.LBB3_997:                              ;   in Loop: Header=BB3_991 Depth=1
	s_mov_b32 s24, 0
	s_cbranch_execz .LBB3_1004
	s_branch .LBB3_1005
.LBB3_998:                              ;   in Loop: Header=BB3_991 Depth=1
	v_mov_b32_e32 v11, 0
	v_mov_b32_e32 v12, 0
	s_cmp_eq_u64 s[14:15], 0
	s_mov_b64 s[4:5], 0
	s_cbranch_scc1 .LBB3_1001
; %bb.999:                              ;   in Loop: Header=BB3_991 Depth=1
	v_mov_b32_e32 v11, 0
	v_mov_b32_e32 v12, 0
	s_lshl_b64 s[18:19], s[16:17], 3
	s_mov_b64 s[20:21], s[8:9]
.LBB3_1000:                             ;   Parent Loop BB3_991 Depth=1
                                        ; =>  This Inner Loop Header: Depth=2
	global_load_ubyte v4, v6, s[20:21]
	s_waitcnt vmcnt(0)
	v_and_b32_e32 v5, 0xffff, v4
	v_lshlrev_b64 v[4:5], s4, v[5:6]
	s_add_u32 s4, s4, 8
	s_addc_u32 s5, s5, 0
	s_add_u32 s20, s20, 1
	s_addc_u32 s21, s21, 0
	s_cmp_lg_u32 s18, s4
	v_or_b32_e32 v11, v4, v11
	v_or_b32_e32 v12, v5, v12
	s_cbranch_scc1 .LBB3_1000
.LBB3_1001:                             ;   in Loop: Header=BB3_991 Depth=1
	s_mov_b32 s23, 0
	s_mov_b64 s[4:5], s[8:9]
	s_cbranch_execnz .LBB3_993
.LBB3_1002:                             ;   in Loop: Header=BB3_991 Depth=1
	global_load_dwordx2 v[11:12], v6, s[8:9]
	s_add_i32 s23, s16, -8
	s_add_u32 s4, s8, 8
	s_addc_u32 s5, s9, 0
	s_cmp_gt_u32 s23, 7
	s_cbranch_scc0 .LBB3_994
.LBB3_1003:                             ;   in Loop: Header=BB3_991 Depth=1
                                        ; implicit-def: $vgpr13_vgpr14
                                        ; implicit-def: $sgpr24
.LBB3_1004:                             ;   in Loop: Header=BB3_991 Depth=1
	global_load_dwordx2 v[13:14], v6, s[4:5]
	s_add_i32 s24, s23, -8
	s_add_u32 s4, s4, 8
	s_addc_u32 s5, s5, 0
.LBB3_1005:                             ;   in Loop: Header=BB3_991 Depth=1
	s_cmp_gt_u32 s24, 7
	s_cbranch_scc1 .LBB3_1010
; %bb.1006:                             ;   in Loop: Header=BB3_991 Depth=1
	v_mov_b32_e32 v15, 0
	v_mov_b32_e32 v16, 0
	s_cmp_eq_u32 s24, 0
	s_cbranch_scc1 .LBB3_1009
; %bb.1007:                             ;   in Loop: Header=BB3_991 Depth=1
	s_mov_b64 s[18:19], 0
	s_mov_b64 s[20:21], 0
.LBB3_1008:                             ;   Parent Loop BB3_991 Depth=1
                                        ; =>  This Inner Loop Header: Depth=2
	s_add_u32 s28, s4, s20
	s_addc_u32 s29, s5, s21
	s_add_u32 s20, s20, 1
	global_load_ubyte v4, v6, s[28:29]
	s_addc_u32 s21, s21, 0
	s_waitcnt vmcnt(0)
	v_and_b32_e32 v5, 0xffff, v4
	v_lshlrev_b64 v[4:5], s18, v[5:6]
	s_add_u32 s18, s18, 8
	s_addc_u32 s19, s19, 0
	s_cmp_lg_u32 s24, s20
	v_or_b32_e32 v15, v4, v15
	v_or_b32_e32 v16, v5, v16
	s_cbranch_scc1 .LBB3_1008
.LBB3_1009:                             ;   in Loop: Header=BB3_991 Depth=1
	s_mov_b32 s23, 0
	s_cbranch_execz .LBB3_1011
	s_branch .LBB3_1012
.LBB3_1010:                             ;   in Loop: Header=BB3_991 Depth=1
                                        ; implicit-def: $sgpr23
.LBB3_1011:                             ;   in Loop: Header=BB3_991 Depth=1
	global_load_dwordx2 v[15:16], v6, s[4:5]
	s_add_i32 s23, s24, -8
	s_add_u32 s4, s4, 8
	s_addc_u32 s5, s5, 0
.LBB3_1012:                             ;   in Loop: Header=BB3_991 Depth=1
	s_cmp_gt_u32 s23, 7
	s_cbranch_scc1 .LBB3_1017
; %bb.1013:                             ;   in Loop: Header=BB3_991 Depth=1
	v_mov_b32_e32 v17, 0
	v_mov_b32_e32 v18, 0
	s_cmp_eq_u32 s23, 0
	s_cbranch_scc1 .LBB3_1016
; %bb.1014:                             ;   in Loop: Header=BB3_991 Depth=1
	s_mov_b64 s[18:19], 0
	s_mov_b64 s[20:21], 0
.LBB3_1015:                             ;   Parent Loop BB3_991 Depth=1
                                        ; =>  This Inner Loop Header: Depth=2
	s_add_u32 s24, s4, s20
	s_addc_u32 s25, s5, s21
	s_add_u32 s20, s20, 1
	global_load_ubyte v4, v6, s[24:25]
	s_addc_u32 s21, s21, 0
	s_waitcnt vmcnt(0)
	v_and_b32_e32 v5, 0xffff, v4
	v_lshlrev_b64 v[4:5], s18, v[5:6]
	s_add_u32 s18, s18, 8
	s_addc_u32 s19, s19, 0
	s_cmp_lg_u32 s23, s20
	v_or_b32_e32 v17, v4, v17
	v_or_b32_e32 v18, v5, v18
	s_cbranch_scc1 .LBB3_1015
.LBB3_1016:                             ;   in Loop: Header=BB3_991 Depth=1
	s_mov_b32 s24, 0
	s_cbranch_execz .LBB3_1018
	s_branch .LBB3_1019
.LBB3_1017:                             ;   in Loop: Header=BB3_991 Depth=1
                                        ; implicit-def: $vgpr17_vgpr18
                                        ; implicit-def: $sgpr24
.LBB3_1018:                             ;   in Loop: Header=BB3_991 Depth=1
	global_load_dwordx2 v[17:18], v6, s[4:5]
	s_add_i32 s24, s23, -8
	s_add_u32 s4, s4, 8
	s_addc_u32 s5, s5, 0
.LBB3_1019:                             ;   in Loop: Header=BB3_991 Depth=1
	s_cmp_gt_u32 s24, 7
	s_cbranch_scc1 .LBB3_1024
; %bb.1020:                             ;   in Loop: Header=BB3_991 Depth=1
	v_mov_b32_e32 v19, 0
	v_mov_b32_e32 v20, 0
	s_cmp_eq_u32 s24, 0
	s_cbranch_scc1 .LBB3_1023
; %bb.1021:                             ;   in Loop: Header=BB3_991 Depth=1
	s_mov_b64 s[18:19], 0
	s_mov_b64 s[20:21], 0
.LBB3_1022:                             ;   Parent Loop BB3_991 Depth=1
                                        ; =>  This Inner Loop Header: Depth=2
	s_add_u32 s28, s4, s20
	s_addc_u32 s29, s5, s21
	s_add_u32 s20, s20, 1
	global_load_ubyte v4, v6, s[28:29]
	s_addc_u32 s21, s21, 0
	s_waitcnt vmcnt(0)
	v_and_b32_e32 v5, 0xffff, v4
	v_lshlrev_b64 v[4:5], s18, v[5:6]
	s_add_u32 s18, s18, 8
	s_addc_u32 s19, s19, 0
	s_cmp_lg_u32 s24, s20
	v_or_b32_e32 v19, v4, v19
	v_or_b32_e32 v20, v5, v20
	s_cbranch_scc1 .LBB3_1022
.LBB3_1023:                             ;   in Loop: Header=BB3_991 Depth=1
	s_mov_b32 s23, 0
	s_cbranch_execz .LBB3_1025
	s_branch .LBB3_1026
.LBB3_1024:                             ;   in Loop: Header=BB3_991 Depth=1
                                        ; implicit-def: $sgpr23
.LBB3_1025:                             ;   in Loop: Header=BB3_991 Depth=1
	global_load_dwordx2 v[19:20], v6, s[4:5]
	s_add_i32 s23, s24, -8
	s_add_u32 s4, s4, 8
	s_addc_u32 s5, s5, 0
.LBB3_1026:                             ;   in Loop: Header=BB3_991 Depth=1
	s_cmp_gt_u32 s23, 7
	s_cbranch_scc1 .LBB3_1031
; %bb.1027:                             ;   in Loop: Header=BB3_991 Depth=1
	v_mov_b32_e32 v21, 0
	v_mov_b32_e32 v22, 0
	s_cmp_eq_u32 s23, 0
	s_cbranch_scc1 .LBB3_1030
; %bb.1028:                             ;   in Loop: Header=BB3_991 Depth=1
	s_mov_b64 s[18:19], 0
	s_mov_b64 s[20:21], 0
.LBB3_1029:                             ;   Parent Loop BB3_991 Depth=1
                                        ; =>  This Inner Loop Header: Depth=2
	s_add_u32 s24, s4, s20
	s_addc_u32 s25, s5, s21
	s_add_u32 s20, s20, 1
	global_load_ubyte v4, v6, s[24:25]
	s_addc_u32 s21, s21, 0
	s_waitcnt vmcnt(0)
	v_and_b32_e32 v5, 0xffff, v4
	v_lshlrev_b64 v[4:5], s18, v[5:6]
	s_add_u32 s18, s18, 8
	s_addc_u32 s19, s19, 0
	s_cmp_lg_u32 s23, s20
	v_or_b32_e32 v21, v4, v21
	v_or_b32_e32 v22, v5, v22
	s_cbranch_scc1 .LBB3_1029
.LBB3_1030:                             ;   in Loop: Header=BB3_991 Depth=1
	s_mov_b32 s24, 0
	s_cbranch_execz .LBB3_1032
	s_branch .LBB3_1033
.LBB3_1031:                             ;   in Loop: Header=BB3_991 Depth=1
                                        ; implicit-def: $vgpr21_vgpr22
                                        ; implicit-def: $sgpr24
.LBB3_1032:                             ;   in Loop: Header=BB3_991 Depth=1
	global_load_dwordx2 v[21:22], v6, s[4:5]
	s_add_i32 s24, s23, -8
	s_add_u32 s4, s4, 8
	s_addc_u32 s5, s5, 0
.LBB3_1033:                             ;   in Loop: Header=BB3_991 Depth=1
	s_cmp_gt_u32 s24, 7
	s_cbranch_scc1 .LBB3_1038
; %bb.1034:                             ;   in Loop: Header=BB3_991 Depth=1
	v_mov_b32_e32 v23, 0
	v_mov_b32_e32 v24, 0
	s_cmp_eq_u32 s24, 0
	s_cbranch_scc1 .LBB3_1037
; %bb.1035:                             ;   in Loop: Header=BB3_991 Depth=1
	s_mov_b64 s[18:19], 0
	s_mov_b64 s[20:21], s[4:5]
.LBB3_1036:                             ;   Parent Loop BB3_991 Depth=1
                                        ; =>  This Inner Loop Header: Depth=2
	global_load_ubyte v4, v6, s[20:21]
	s_add_i32 s24, s24, -1
	s_waitcnt vmcnt(0)
	v_and_b32_e32 v5, 0xffff, v4
	v_lshlrev_b64 v[4:5], s18, v[5:6]
	s_add_u32 s18, s18, 8
	s_addc_u32 s19, s19, 0
	s_add_u32 s20, s20, 1
	s_addc_u32 s21, s21, 0
	s_cmp_lg_u32 s24, 0
	v_or_b32_e32 v23, v4, v23
	v_or_b32_e32 v24, v5, v24
	s_cbranch_scc1 .LBB3_1036
.LBB3_1037:                             ;   in Loop: Header=BB3_991 Depth=1
	s_cbranch_execz .LBB3_1039
	s_branch .LBB3_1040
.LBB3_1038:                             ;   in Loop: Header=BB3_991 Depth=1
.LBB3_1039:                             ;   in Loop: Header=BB3_991 Depth=1
	global_load_dwordx2 v[23:24], v6, s[4:5]
.LBB3_1040:                             ;   in Loop: Header=BB3_991 Depth=1
	v_readfirstlane_b32 s4, v37
	s_waitcnt vmcnt(0)
	v_mov_b32_e32 v4, 0
	v_mov_b32_e32 v5, 0
	v_cmp_eq_u32_e64 s4, s4, v37
	s_and_saveexec_b32 s5, s4
	s_cbranch_execz .LBB3_1046
; %bb.1041:                             ;   in Loop: Header=BB3_991 Depth=1
	global_load_dwordx2 v[27:28], v6, s[26:27] offset:24 glc dlc
	s_waitcnt vmcnt(0)
	buffer_gl1_inv
	buffer_gl0_inv
	s_clause 0x1
	global_load_dwordx2 v[4:5], v6, s[26:27] offset:40
	global_load_dwordx2 v[9:10], v6, s[26:27]
	s_mov_b32 s18, exec_lo
	s_waitcnt vmcnt(1)
	v_and_b32_e32 v5, v5, v28
	v_and_b32_e32 v4, v4, v27
	v_mul_lo_u32 v5, v5, 24
	v_mul_hi_u32 v25, v4, 24
	v_mul_lo_u32 v4, v4, 24
	v_add_nc_u32_e32 v5, v25, v5
	s_waitcnt vmcnt(0)
	v_add_co_u32 v4, vcc_lo, v9, v4
	v_add_co_ci_u32_e32 v5, vcc_lo, v10, v5, vcc_lo
	global_load_dwordx2 v[25:26], v[4:5], off glc dlc
	s_waitcnt vmcnt(0)
	global_atomic_cmpswap_x2 v[4:5], v6, v[25:28], s[26:27] offset:24 glc
	s_waitcnt vmcnt(0)
	buffer_gl1_inv
	buffer_gl0_inv
	v_cmpx_ne_u64_e64 v[4:5], v[27:28]
	s_cbranch_execz .LBB3_1045
; %bb.1042:                             ;   in Loop: Header=BB3_991 Depth=1
	s_mov_b32 s19, 0
	.p2align	6
.LBB3_1043:                             ;   Parent Loop BB3_991 Depth=1
                                        ; =>  This Inner Loop Header: Depth=2
	s_sleep 1
	s_clause 0x1
	global_load_dwordx2 v[9:10], v6, s[26:27] offset:40
	global_load_dwordx2 v[25:26], v6, s[26:27]
	v_mov_b32_e32 v28, v5
	v_mov_b32_e32 v27, v4
	s_waitcnt vmcnt(1)
	v_and_b32_e32 v4, v9, v27
	v_and_b32_e32 v9, v10, v28
	s_waitcnt vmcnt(0)
	v_mad_u64_u32 v[4:5], null, v4, 24, v[25:26]
	v_mad_u64_u32 v[9:10], null, v9, 24, v[5:6]
	v_mov_b32_e32 v5, v9
	global_load_dwordx2 v[25:26], v[4:5], off glc dlc
	s_waitcnt vmcnt(0)
	global_atomic_cmpswap_x2 v[4:5], v6, v[25:28], s[26:27] offset:24 glc
	s_waitcnt vmcnt(0)
	buffer_gl1_inv
	buffer_gl0_inv
	v_cmp_eq_u64_e32 vcc_lo, v[4:5], v[27:28]
	s_or_b32 s19, vcc_lo, s19
	s_andn2_b32 exec_lo, exec_lo, s19
	s_cbranch_execnz .LBB3_1043
; %bb.1044:                             ;   in Loop: Header=BB3_991 Depth=1
	s_or_b32 exec_lo, exec_lo, s19
.LBB3_1045:                             ;   in Loop: Header=BB3_991 Depth=1
	s_or_b32 exec_lo, exec_lo, s18
.LBB3_1046:                             ;   in Loop: Header=BB3_991 Depth=1
	s_or_b32 exec_lo, exec_lo, s5
	s_clause 0x1
	global_load_dwordx2 v[9:10], v6, s[26:27] offset:40
	global_load_dwordx4 v[25:28], v6, s[26:27]
	v_readfirstlane_b32 s18, v4
	v_readfirstlane_b32 s19, v5
	s_mov_b32 s5, exec_lo
	s_waitcnt vmcnt(1)
	v_readfirstlane_b32 s20, v9
	v_readfirstlane_b32 s21, v10
	s_and_b64 s[20:21], s[18:19], s[20:21]
	s_mul_i32 s23, s21, 24
	s_mul_hi_u32 s24, s20, 24
	s_mul_i32 s25, s20, 24
	s_add_i32 s24, s24, s23
	s_waitcnt vmcnt(0)
	v_add_co_u32 v29, vcc_lo, v25, s25
	v_add_co_ci_u32_e32 v30, vcc_lo, s24, v26, vcc_lo
	s_and_saveexec_b32 s23, s4
	s_cbranch_execz .LBB3_1048
; %bb.1047:                             ;   in Loop: Header=BB3_991 Depth=1
	v_mov_b32_e32 v5, s5
	global_store_dwordx4 v[29:30], v[5:8], off offset:8
.LBB3_1048:                             ;   in Loop: Header=BB3_991 Depth=1
	s_or_b32 exec_lo, exec_lo, s23
	s_lshl_b64 s[20:21], s[20:21], 12
	v_cmp_gt_u64_e64 vcc_lo, s[14:15], 56
	v_or_b32_e32 v5, v2, v31
	v_add_co_u32 v27, s5, v27, s20
	v_add_co_ci_u32_e64 v28, s5, s21, v28, s5
	s_lshl_b32 s5, s16, 2
	v_or_b32_e32 v4, 0, v3
	v_cndmask_b32_e32 v2, v5, v2, vcc_lo
	s_add_i32 s5, s5, 28
	v_readfirstlane_b32 s20, v27
	s_and_b32 s5, s5, 0x1e0
	v_cndmask_b32_e32 v10, v4, v3, vcc_lo
	v_readfirstlane_b32 s21, v28
	v_and_or_b32 v9, 0xffffff1f, v2, s5
	global_store_dwordx4 v36, v[9:12], s[20:21]
	global_store_dwordx4 v36, v[13:16], s[20:21] offset:16
	global_store_dwordx4 v36, v[17:20], s[20:21] offset:32
	;; [unrolled: 1-line block ×3, first 2 shown]
	s_and_saveexec_b32 s5, s4
	s_cbranch_execz .LBB3_1056
; %bb.1049:                             ;   in Loop: Header=BB3_991 Depth=1
	s_clause 0x1
	global_load_dwordx2 v[13:14], v6, s[26:27] offset:32 glc dlc
	global_load_dwordx2 v[2:3], v6, s[26:27] offset:40
	v_mov_b32_e32 v11, s18
	v_mov_b32_e32 v12, s19
	s_waitcnt vmcnt(0)
	v_readfirstlane_b32 s20, v2
	v_readfirstlane_b32 s21, v3
	s_and_b64 s[20:21], s[20:21], s[18:19]
	s_mul_i32 s21, s21, 24
	s_mul_hi_u32 s23, s20, 24
	s_mul_i32 s20, s20, 24
	s_add_i32 s23, s23, s21
	v_add_co_u32 v9, vcc_lo, v25, s20
	v_add_co_ci_u32_e32 v10, vcc_lo, s23, v26, vcc_lo
	s_mov_b32 s20, exec_lo
	global_store_dwordx2 v[9:10], v[13:14], off
	s_waitcnt_vscnt null, 0x0
	global_atomic_cmpswap_x2 v[4:5], v6, v[11:14], s[26:27] offset:32 glc
	s_waitcnt vmcnt(0)
	v_cmpx_ne_u64_e64 v[4:5], v[13:14]
	s_cbranch_execz .LBB3_1052
; %bb.1050:                             ;   in Loop: Header=BB3_991 Depth=1
	s_mov_b32 s21, 0
.LBB3_1051:                             ;   Parent Loop BB3_991 Depth=1
                                        ; =>  This Inner Loop Header: Depth=2
	v_mov_b32_e32 v2, s18
	v_mov_b32_e32 v3, s19
	s_sleep 1
	global_store_dwordx2 v[9:10], v[4:5], off
	s_waitcnt_vscnt null, 0x0
	global_atomic_cmpswap_x2 v[2:3], v6, v[2:5], s[26:27] offset:32 glc
	s_waitcnt vmcnt(0)
	v_cmp_eq_u64_e32 vcc_lo, v[2:3], v[4:5]
	v_mov_b32_e32 v5, v3
	v_mov_b32_e32 v4, v2
	s_or_b32 s21, vcc_lo, s21
	s_andn2_b32 exec_lo, exec_lo, s21
	s_cbranch_execnz .LBB3_1051
.LBB3_1052:                             ;   in Loop: Header=BB3_991 Depth=1
	s_or_b32 exec_lo, exec_lo, s20
	global_load_dwordx2 v[2:3], v6, s[26:27] offset:16
	s_mov_b32 s21, exec_lo
	s_mov_b32 s20, exec_lo
	v_mbcnt_lo_u32_b32 v4, s21, 0
	v_cmpx_eq_u32_e32 0, v4
	s_cbranch_execz .LBB3_1054
; %bb.1053:                             ;   in Loop: Header=BB3_991 Depth=1
	s_bcnt1_i32_b32 s21, s21
	v_mov_b32_e32 v5, s21
	s_waitcnt vmcnt(0)
	global_atomic_add_x2 v[2:3], v[5:6], off offset:8
.LBB3_1054:                             ;   in Loop: Header=BB3_991 Depth=1
	s_or_b32 exec_lo, exec_lo, s20
	s_waitcnt vmcnt(0)
	global_load_dwordx2 v[9:10], v[2:3], off offset:16
	s_waitcnt vmcnt(0)
	v_cmp_eq_u64_e32 vcc_lo, 0, v[9:10]
	s_cbranch_vccnz .LBB3_1056
; %bb.1055:                             ;   in Loop: Header=BB3_991 Depth=1
	global_load_dword v5, v[2:3], off offset:24
	s_waitcnt vmcnt(0)
	v_and_b32_e32 v2, 0x7fffff, v5
	s_waitcnt_vscnt null, 0x0
	global_store_dwordx2 v[9:10], v[5:6], off
	v_readfirstlane_b32 m0, v2
	s_sendmsg sendmsg(MSG_INTERRUPT)
.LBB3_1056:                             ;   in Loop: Header=BB3_991 Depth=1
	s_or_b32 exec_lo, exec_lo, s5
	v_add_co_u32 v2, vcc_lo, v27, v36
	v_add_co_ci_u32_e32 v3, vcc_lo, 0, v28, vcc_lo
	s_branch .LBB3_1060
	.p2align	6
.LBB3_1057:                             ;   in Loop: Header=BB3_1060 Depth=2
	s_or_b32 exec_lo, exec_lo, s5
	v_readfirstlane_b32 s5, v4
	s_cmp_eq_u32 s5, 0
	s_cbranch_scc1 .LBB3_1059
; %bb.1058:                             ;   in Loop: Header=BB3_1060 Depth=2
	s_sleep 1
	s_cbranch_execnz .LBB3_1060
	s_branch .LBB3_1062
	.p2align	6
.LBB3_1059:                             ;   in Loop: Header=BB3_991 Depth=1
	s_branch .LBB3_1062
.LBB3_1060:                             ;   Parent Loop BB3_991 Depth=1
                                        ; =>  This Inner Loop Header: Depth=2
	v_mov_b32_e32 v4, 1
	s_and_saveexec_b32 s5, s4
	s_cbranch_execz .LBB3_1057
; %bb.1061:                             ;   in Loop: Header=BB3_1060 Depth=2
	global_load_dword v4, v[29:30], off offset:20 glc dlc
	s_waitcnt vmcnt(0)
	buffer_gl1_inv
	buffer_gl0_inv
	v_and_b32_e32 v4, 1, v4
	s_branch .LBB3_1057
.LBB3_1062:                             ;   in Loop: Header=BB3_991 Depth=1
	global_load_dwordx4 v[2:5], v[2:3], off
	s_and_saveexec_b32 s5, s4
	s_cbranch_execz .LBB3_990
; %bb.1063:                             ;   in Loop: Header=BB3_991 Depth=1
	s_clause 0x2
	global_load_dwordx2 v[4:5], v6, s[26:27] offset:40
	global_load_dwordx2 v[13:14], v6, s[26:27] offset:24 glc dlc
	global_load_dwordx2 v[11:12], v6, s[26:27]
	s_waitcnt vmcnt(2)
	v_add_co_u32 v15, vcc_lo, v4, 1
	v_add_co_ci_u32_e32 v16, vcc_lo, 0, v5, vcc_lo
	v_add_co_u32 v9, vcc_lo, v15, s18
	v_add_co_ci_u32_e32 v10, vcc_lo, s19, v16, vcc_lo
	v_cmp_eq_u64_e32 vcc_lo, 0, v[9:10]
	v_cndmask_b32_e32 v10, v10, v16, vcc_lo
	v_cndmask_b32_e32 v9, v9, v15, vcc_lo
	v_and_b32_e32 v5, v10, v5
	v_and_b32_e32 v4, v9, v4
	v_mul_lo_u32 v5, v5, 24
	v_mul_hi_u32 v15, v4, 24
	v_mul_lo_u32 v4, v4, 24
	v_add_nc_u32_e32 v5, v15, v5
	s_waitcnt vmcnt(0)
	v_add_co_u32 v4, vcc_lo, v11, v4
	v_mov_b32_e32 v11, v13
	v_add_co_ci_u32_e32 v5, vcc_lo, v12, v5, vcc_lo
	v_mov_b32_e32 v12, v14
	global_store_dwordx2 v[4:5], v[13:14], off
	s_waitcnt_vscnt null, 0x0
	global_atomic_cmpswap_x2 v[11:12], v6, v[9:12], s[26:27] offset:24 glc
	s_waitcnt vmcnt(0)
	v_cmp_ne_u64_e32 vcc_lo, v[11:12], v[13:14]
	s_and_b32 exec_lo, exec_lo, vcc_lo
	s_cbranch_execz .LBB3_990
; %bb.1064:                             ;   in Loop: Header=BB3_991 Depth=1
	s_mov_b32 s4, 0
.LBB3_1065:                             ;   Parent Loop BB3_991 Depth=1
                                        ; =>  This Inner Loop Header: Depth=2
	s_sleep 1
	global_store_dwordx2 v[4:5], v[11:12], off
	s_waitcnt_vscnt null, 0x0
	global_atomic_cmpswap_x2 v[13:14], v6, v[9:12], s[26:27] offset:24 glc
	s_waitcnt vmcnt(0)
	v_cmp_eq_u64_e32 vcc_lo, v[13:14], v[11:12]
	v_mov_b32_e32 v11, v13
	v_mov_b32_e32 v12, v14
	s_or_b32 s4, vcc_lo, s4
	s_andn2_b32 exec_lo, exec_lo, s4
	s_cbranch_execnz .LBB3_1065
	s_branch .LBB3_990
.LBB3_1066:
	s_branch .LBB3_1095
.LBB3_1067:
                                        ; implicit-def: $vgpr2_vgpr3
	s_cbranch_execz .LBB3_1095
; %bb.1068:
	v_readfirstlane_b32 s4, v37
	v_mov_b32_e32 v8, 0
	v_mov_b32_e32 v9, 0
	v_cmp_eq_u32_e64 s4, s4, v37
	s_and_saveexec_b32 s5, s4
	s_cbranch_execz .LBB3_1074
; %bb.1069:
	s_waitcnt vmcnt(0)
	v_mov_b32_e32 v2, 0
	s_mov_b32 s8, exec_lo
	global_load_dwordx2 v[5:6], v2, s[26:27] offset:24 glc dlc
	s_waitcnt vmcnt(0)
	buffer_gl1_inv
	buffer_gl0_inv
	s_clause 0x1
	global_load_dwordx2 v[3:4], v2, s[26:27] offset:40
	global_load_dwordx2 v[7:8], v2, s[26:27]
	s_waitcnt vmcnt(1)
	v_and_b32_e32 v4, v4, v6
	v_and_b32_e32 v3, v3, v5
	v_mul_lo_u32 v4, v4, 24
	v_mul_hi_u32 v9, v3, 24
	v_mul_lo_u32 v3, v3, 24
	v_add_nc_u32_e32 v4, v9, v4
	s_waitcnt vmcnt(0)
	v_add_co_u32 v3, vcc_lo, v7, v3
	v_add_co_ci_u32_e32 v4, vcc_lo, v8, v4, vcc_lo
	global_load_dwordx2 v[3:4], v[3:4], off glc dlc
	s_waitcnt vmcnt(0)
	global_atomic_cmpswap_x2 v[8:9], v2, v[3:6], s[26:27] offset:24 glc
	s_waitcnt vmcnt(0)
	buffer_gl1_inv
	buffer_gl0_inv
	v_cmpx_ne_u64_e64 v[8:9], v[5:6]
	s_cbranch_execz .LBB3_1073
; %bb.1070:
	s_mov_b32 s9, 0
	.p2align	6
.LBB3_1071:                             ; =>This Inner Loop Header: Depth=1
	s_sleep 1
	s_clause 0x1
	global_load_dwordx2 v[3:4], v2, s[26:27] offset:40
	global_load_dwordx2 v[10:11], v2, s[26:27]
	v_mov_b32_e32 v5, v8
	v_mov_b32_e32 v6, v9
	s_waitcnt vmcnt(1)
	v_and_b32_e32 v3, v3, v5
	v_and_b32_e32 v4, v4, v6
	s_waitcnt vmcnt(0)
	v_mad_u64_u32 v[7:8], null, v3, 24, v[10:11]
	v_mov_b32_e32 v3, v8
	v_mad_u64_u32 v[3:4], null, v4, 24, v[3:4]
	v_mov_b32_e32 v8, v3
	global_load_dwordx2 v[3:4], v[7:8], off glc dlc
	s_waitcnt vmcnt(0)
	global_atomic_cmpswap_x2 v[8:9], v2, v[3:6], s[26:27] offset:24 glc
	s_waitcnt vmcnt(0)
	buffer_gl1_inv
	buffer_gl0_inv
	v_cmp_eq_u64_e32 vcc_lo, v[8:9], v[5:6]
	s_or_b32 s9, vcc_lo, s9
	s_andn2_b32 exec_lo, exec_lo, s9
	s_cbranch_execnz .LBB3_1071
; %bb.1072:
	s_or_b32 exec_lo, exec_lo, s9
.LBB3_1073:
	s_or_b32 exec_lo, exec_lo, s8
.LBB3_1074:
	s_or_b32 exec_lo, exec_lo, s5
	s_waitcnt vmcnt(0)
	v_mov_b32_e32 v2, 0
	v_readfirstlane_b32 s8, v8
	v_readfirstlane_b32 s9, v9
	s_mov_b32 s5, exec_lo
	s_clause 0x1
	global_load_dwordx2 v[10:11], v2, s[26:27] offset:40
	global_load_dwordx4 v[4:7], v2, s[26:27]
	s_waitcnt vmcnt(1)
	v_readfirstlane_b32 s14, v10
	v_readfirstlane_b32 s15, v11
	s_and_b64 s[14:15], s[8:9], s[14:15]
	s_mul_i32 s16, s15, 24
	s_mul_hi_u32 s17, s14, 24
	s_mul_i32 s18, s14, 24
	s_add_i32 s17, s17, s16
	s_waitcnt vmcnt(0)
	v_add_co_u32 v8, vcc_lo, v4, s18
	v_add_co_ci_u32_e32 v9, vcc_lo, s17, v5, vcc_lo
	s_and_saveexec_b32 s16, s4
	s_cbranch_execz .LBB3_1076
; %bb.1075:
	v_mov_b32_e32 v10, s5
	v_mov_b32_e32 v11, v2
	;; [unrolled: 1-line block ×4, first 2 shown]
	global_store_dwordx4 v[8:9], v[10:13], off offset:8
.LBB3_1076:
	s_or_b32 exec_lo, exec_lo, s16
	s_lshl_b64 s[14:15], s[14:15], 12
	s_mov_b32 s16, 0
	v_add_co_u32 v6, vcc_lo, v6, s14
	v_add_co_ci_u32_e32 v7, vcc_lo, s15, v7, vcc_lo
	s_mov_b32 s17, s16
	v_readfirstlane_b32 s14, v6
	v_add_co_u32 v6, vcc_lo, v6, v36
	s_mov_b32 s18, s16
	s_mov_b32 s19, s16
	v_and_or_b32 v0, 0xffffff1f, v0, 32
	v_mov_b32_e32 v3, v2
	v_readfirstlane_b32 s15, v7
	v_mov_b32_e32 v10, s16
	v_add_co_ci_u32_e32 v7, vcc_lo, 0, v7, vcc_lo
	v_mov_b32_e32 v11, s17
	v_mov_b32_e32 v12, s18
	;; [unrolled: 1-line block ×3, first 2 shown]
	global_store_dwordx4 v36, v[0:3], s[14:15]
	global_store_dwordx4 v36, v[10:13], s[14:15] offset:16
	global_store_dwordx4 v36, v[10:13], s[14:15] offset:32
	;; [unrolled: 1-line block ×3, first 2 shown]
	s_and_saveexec_b32 s5, s4
	s_cbranch_execz .LBB3_1084
; %bb.1077:
	v_mov_b32_e32 v10, 0
	v_mov_b32_e32 v11, s8
	;; [unrolled: 1-line block ×3, first 2 shown]
	s_clause 0x1
	global_load_dwordx2 v[13:14], v10, s[26:27] offset:32 glc dlc
	global_load_dwordx2 v[0:1], v10, s[26:27] offset:40
	s_waitcnt vmcnt(0)
	v_readfirstlane_b32 s14, v0
	v_readfirstlane_b32 s15, v1
	s_and_b64 s[14:15], s[14:15], s[8:9]
	s_mul_i32 s15, s15, 24
	s_mul_hi_u32 s16, s14, 24
	s_mul_i32 s14, s14, 24
	s_add_i32 s16, s16, s15
	v_add_co_u32 v4, vcc_lo, v4, s14
	v_add_co_ci_u32_e32 v5, vcc_lo, s16, v5, vcc_lo
	s_mov_b32 s14, exec_lo
	global_store_dwordx2 v[4:5], v[13:14], off
	s_waitcnt_vscnt null, 0x0
	global_atomic_cmpswap_x2 v[2:3], v10, v[11:14], s[26:27] offset:32 glc
	s_waitcnt vmcnt(0)
	v_cmpx_ne_u64_e64 v[2:3], v[13:14]
	s_cbranch_execz .LBB3_1080
; %bb.1078:
	s_mov_b32 s15, 0
.LBB3_1079:                             ; =>This Inner Loop Header: Depth=1
	v_mov_b32_e32 v0, s8
	v_mov_b32_e32 v1, s9
	s_sleep 1
	global_store_dwordx2 v[4:5], v[2:3], off
	s_waitcnt_vscnt null, 0x0
	global_atomic_cmpswap_x2 v[0:1], v10, v[0:3], s[26:27] offset:32 glc
	s_waitcnt vmcnt(0)
	v_cmp_eq_u64_e32 vcc_lo, v[0:1], v[2:3]
	v_mov_b32_e32 v3, v1
	v_mov_b32_e32 v2, v0
	s_or_b32 s15, vcc_lo, s15
	s_andn2_b32 exec_lo, exec_lo, s15
	s_cbranch_execnz .LBB3_1079
.LBB3_1080:
	s_or_b32 exec_lo, exec_lo, s14
	v_mov_b32_e32 v3, 0
	s_mov_b32 s15, exec_lo
	s_mov_b32 s14, exec_lo
	v_mbcnt_lo_u32_b32 v2, s15, 0
	global_load_dwordx2 v[0:1], v3, s[26:27] offset:16
	v_cmpx_eq_u32_e32 0, v2
	s_cbranch_execz .LBB3_1082
; %bb.1081:
	s_bcnt1_i32_b32 s15, s15
	v_mov_b32_e32 v2, s15
	s_waitcnt vmcnt(0)
	global_atomic_add_x2 v[0:1], v[2:3], off offset:8
.LBB3_1082:
	s_or_b32 exec_lo, exec_lo, s14
	s_waitcnt vmcnt(0)
	global_load_dwordx2 v[2:3], v[0:1], off offset:16
	s_waitcnt vmcnt(0)
	v_cmp_eq_u64_e32 vcc_lo, 0, v[2:3]
	s_cbranch_vccnz .LBB3_1084
; %bb.1083:
	global_load_dword v0, v[0:1], off offset:24
	v_mov_b32_e32 v1, 0
	s_waitcnt vmcnt(0)
	v_and_b32_e32 v4, 0x7fffff, v0
	s_waitcnt_vscnt null, 0x0
	global_store_dwordx2 v[2:3], v[0:1], off
	v_readfirstlane_b32 m0, v4
	s_sendmsg sendmsg(MSG_INTERRUPT)
.LBB3_1084:
	s_or_b32 exec_lo, exec_lo, s5
	s_branch .LBB3_1088
	.p2align	6
.LBB3_1085:                             ;   in Loop: Header=BB3_1088 Depth=1
	s_or_b32 exec_lo, exec_lo, s5
	v_readfirstlane_b32 s5, v0
	s_cmp_eq_u32 s5, 0
	s_cbranch_scc1 .LBB3_1087
; %bb.1086:                             ;   in Loop: Header=BB3_1088 Depth=1
	s_sleep 1
	s_cbranch_execnz .LBB3_1088
	s_branch .LBB3_1090
	.p2align	6
.LBB3_1087:
	s_branch .LBB3_1090
.LBB3_1088:                             ; =>This Inner Loop Header: Depth=1
	v_mov_b32_e32 v0, 1
	s_and_saveexec_b32 s5, s4
	s_cbranch_execz .LBB3_1085
; %bb.1089:                             ;   in Loop: Header=BB3_1088 Depth=1
	global_load_dword v0, v[8:9], off offset:20 glc dlc
	s_waitcnt vmcnt(0)
	buffer_gl1_inv
	buffer_gl0_inv
	v_and_b32_e32 v0, 1, v0
	s_branch .LBB3_1085
.LBB3_1090:
	global_load_dwordx2 v[2:3], v[6:7], off
	s_and_saveexec_b32 s5, s4
	s_cbranch_execz .LBB3_1094
; %bb.1091:
	v_mov_b32_e32 v8, 0
	s_clause 0x2
	global_load_dwordx2 v[0:1], v8, s[26:27] offset:40
	global_load_dwordx2 v[9:10], v8, s[26:27] offset:24 glc dlc
	global_load_dwordx2 v[6:7], v8, s[26:27]
	s_waitcnt vmcnt(2)
	v_add_co_u32 v11, vcc_lo, v0, 1
	v_add_co_ci_u32_e32 v12, vcc_lo, 0, v1, vcc_lo
	v_add_co_u32 v4, vcc_lo, v11, s8
	v_add_co_ci_u32_e32 v5, vcc_lo, s9, v12, vcc_lo
	v_cmp_eq_u64_e32 vcc_lo, 0, v[4:5]
	v_cndmask_b32_e32 v5, v5, v12, vcc_lo
	v_cndmask_b32_e32 v4, v4, v11, vcc_lo
	v_and_b32_e32 v1, v5, v1
	v_and_b32_e32 v0, v4, v0
	v_mul_lo_u32 v1, v1, 24
	v_mul_hi_u32 v11, v0, 24
	v_mul_lo_u32 v0, v0, 24
	v_add_nc_u32_e32 v1, v11, v1
	s_waitcnt vmcnt(0)
	v_add_co_u32 v0, vcc_lo, v6, v0
	v_mov_b32_e32 v6, v9
	v_add_co_ci_u32_e32 v1, vcc_lo, v7, v1, vcc_lo
	v_mov_b32_e32 v7, v10
	global_store_dwordx2 v[0:1], v[9:10], off
	s_waitcnt_vscnt null, 0x0
	global_atomic_cmpswap_x2 v[6:7], v8, v[4:7], s[26:27] offset:24 glc
	s_waitcnt vmcnt(0)
	v_cmp_ne_u64_e32 vcc_lo, v[6:7], v[9:10]
	s_and_b32 exec_lo, exec_lo, vcc_lo
	s_cbranch_execz .LBB3_1094
; %bb.1092:
	s_mov_b32 s4, 0
.LBB3_1093:                             ; =>This Inner Loop Header: Depth=1
	s_sleep 1
	global_store_dwordx2 v[0:1], v[6:7], off
	s_waitcnt_vscnt null, 0x0
	global_atomic_cmpswap_x2 v[9:10], v8, v[4:7], s[26:27] offset:24 glc
	s_waitcnt vmcnt(0)
	v_cmp_eq_u64_e32 vcc_lo, v[9:10], v[6:7]
	v_mov_b32_e32 v6, v9
	v_mov_b32_e32 v7, v10
	s_or_b32 s4, vcc_lo, s4
	s_andn2_b32 exec_lo, exec_lo, s4
	s_cbranch_execnz .LBB3_1093
.LBB3_1094:
	s_or_b32 exec_lo, exec_lo, s5
.LBB3_1095:
	v_readfirstlane_b32 s4, v37
	s_waitcnt vmcnt(0)
	v_mov_b32_e32 v0, 0
	v_mov_b32_e32 v1, 0
	v_cmp_eq_u32_e64 s4, s4, v37
	s_and_saveexec_b32 s5, s4
	s_cbranch_execz .LBB3_1101
; %bb.1096:
	v_mov_b32_e32 v4, 0
	s_mov_b32 s8, exec_lo
	global_load_dwordx2 v[7:8], v4, s[26:27] offset:24 glc dlc
	s_waitcnt vmcnt(0)
	buffer_gl1_inv
	buffer_gl0_inv
	s_clause 0x1
	global_load_dwordx2 v[0:1], v4, s[26:27] offset:40
	global_load_dwordx2 v[5:6], v4, s[26:27]
	s_waitcnt vmcnt(1)
	v_and_b32_e32 v1, v1, v8
	v_and_b32_e32 v0, v0, v7
	v_mul_lo_u32 v1, v1, 24
	v_mul_hi_u32 v9, v0, 24
	v_mul_lo_u32 v0, v0, 24
	v_add_nc_u32_e32 v1, v9, v1
	s_waitcnt vmcnt(0)
	v_add_co_u32 v0, vcc_lo, v5, v0
	v_add_co_ci_u32_e32 v1, vcc_lo, v6, v1, vcc_lo
	global_load_dwordx2 v[5:6], v[0:1], off glc dlc
	s_waitcnt vmcnt(0)
	global_atomic_cmpswap_x2 v[0:1], v4, v[5:8], s[26:27] offset:24 glc
	s_waitcnt vmcnt(0)
	buffer_gl1_inv
	buffer_gl0_inv
	v_cmpx_ne_u64_e64 v[0:1], v[7:8]
	s_cbranch_execz .LBB3_1100
; %bb.1097:
	s_mov_b32 s9, 0
	.p2align	6
.LBB3_1098:                             ; =>This Inner Loop Header: Depth=1
	s_sleep 1
	s_clause 0x1
	global_load_dwordx2 v[5:6], v4, s[26:27] offset:40
	global_load_dwordx2 v[9:10], v4, s[26:27]
	v_mov_b32_e32 v8, v1
	v_mov_b32_e32 v7, v0
	s_waitcnt vmcnt(1)
	v_and_b32_e32 v0, v5, v7
	v_and_b32_e32 v5, v6, v8
	s_waitcnt vmcnt(0)
	v_mad_u64_u32 v[0:1], null, v0, 24, v[9:10]
	v_mad_u64_u32 v[5:6], null, v5, 24, v[1:2]
	v_mov_b32_e32 v1, v5
	global_load_dwordx2 v[5:6], v[0:1], off glc dlc
	s_waitcnt vmcnt(0)
	global_atomic_cmpswap_x2 v[0:1], v4, v[5:8], s[26:27] offset:24 glc
	s_waitcnt vmcnt(0)
	buffer_gl1_inv
	buffer_gl0_inv
	v_cmp_eq_u64_e32 vcc_lo, v[0:1], v[7:8]
	s_or_b32 s9, vcc_lo, s9
	s_andn2_b32 exec_lo, exec_lo, s9
	s_cbranch_execnz .LBB3_1098
; %bb.1099:
	s_or_b32 exec_lo, exec_lo, s9
.LBB3_1100:
	s_or_b32 exec_lo, exec_lo, s8
.LBB3_1101:
	s_or_b32 exec_lo, exec_lo, s5
	v_mov_b32_e32 v5, 0
	v_readfirstlane_b32 s8, v0
	v_readfirstlane_b32 s9, v1
	s_mov_b32 s5, exec_lo
	s_clause 0x1
	global_load_dwordx2 v[10:11], v5, s[26:27] offset:40
	global_load_dwordx4 v[6:9], v5, s[26:27]
	s_waitcnt vmcnt(1)
	v_readfirstlane_b32 s14, v10
	v_readfirstlane_b32 s15, v11
	s_and_b64 s[14:15], s[8:9], s[14:15]
	s_mul_i32 s16, s15, 24
	s_mul_hi_u32 s17, s14, 24
	s_mul_i32 s18, s14, 24
	s_add_i32 s17, s17, s16
	s_waitcnt vmcnt(0)
	v_add_co_u32 v10, vcc_lo, v6, s18
	v_add_co_ci_u32_e32 v11, vcc_lo, s17, v7, vcc_lo
	s_and_saveexec_b32 s16, s4
	s_cbranch_execz .LBB3_1103
; %bb.1102:
	v_mov_b32_e32 v4, s5
	v_mov_b32_e32 v13, v5
	;; [unrolled: 1-line block ×5, first 2 shown]
	global_store_dwordx4 v[10:11], v[12:15], off offset:8
.LBB3_1103:
	s_or_b32 exec_lo, exec_lo, s16
	s_lshl_b64 s[14:15], s[14:15], 12
	s_mov_b32 s16, 0
	v_add_co_u32 v0, vcc_lo, v8, s14
	v_add_co_ci_u32_e32 v1, vcc_lo, s15, v9, vcc_lo
	s_mov_b32 s17, s16
	s_mov_b32 s18, s16
	;; [unrolled: 1-line block ×3, first 2 shown]
	v_and_or_b32 v2, 0xffffff1d, v2, 34
	v_mov_b32_e32 v4, 58
	v_readfirstlane_b32 s14, v0
	v_readfirstlane_b32 s15, v1
	v_mov_b32_e32 v12, s16
	v_mov_b32_e32 v13, s17
	v_mov_b32_e32 v14, s18
	v_mov_b32_e32 v15, s19
	global_store_dwordx4 v36, v[2:5], s[14:15]
	global_store_dwordx4 v36, v[12:15], s[14:15] offset:16
	global_store_dwordx4 v36, v[12:15], s[14:15] offset:32
	;; [unrolled: 1-line block ×3, first 2 shown]
	s_and_saveexec_b32 s5, s4
	s_cbranch_execz .LBB3_1111
; %bb.1104:
	v_mov_b32_e32 v8, 0
	v_mov_b32_e32 v12, s8
	;; [unrolled: 1-line block ×3, first 2 shown]
	s_clause 0x1
	global_load_dwordx2 v[14:15], v8, s[26:27] offset:32 glc dlc
	global_load_dwordx2 v[0:1], v8, s[26:27] offset:40
	s_waitcnt vmcnt(0)
	v_readfirstlane_b32 s14, v0
	v_readfirstlane_b32 s15, v1
	s_and_b64 s[14:15], s[14:15], s[8:9]
	s_mul_i32 s15, s15, 24
	s_mul_hi_u32 s16, s14, 24
	s_mul_i32 s14, s14, 24
	s_add_i32 s16, s16, s15
	v_add_co_u32 v4, vcc_lo, v6, s14
	v_add_co_ci_u32_e32 v5, vcc_lo, s16, v7, vcc_lo
	s_mov_b32 s14, exec_lo
	global_store_dwordx2 v[4:5], v[14:15], off
	s_waitcnt_vscnt null, 0x0
	global_atomic_cmpswap_x2 v[2:3], v8, v[12:15], s[26:27] offset:32 glc
	s_waitcnt vmcnt(0)
	v_cmpx_ne_u64_e64 v[2:3], v[14:15]
	s_cbranch_execz .LBB3_1107
; %bb.1105:
	s_mov_b32 s15, 0
.LBB3_1106:                             ; =>This Inner Loop Header: Depth=1
	v_mov_b32_e32 v0, s8
	v_mov_b32_e32 v1, s9
	s_sleep 1
	global_store_dwordx2 v[4:5], v[2:3], off
	s_waitcnt_vscnt null, 0x0
	global_atomic_cmpswap_x2 v[0:1], v8, v[0:3], s[26:27] offset:32 glc
	s_waitcnt vmcnt(0)
	v_cmp_eq_u64_e32 vcc_lo, v[0:1], v[2:3]
	v_mov_b32_e32 v3, v1
	v_mov_b32_e32 v2, v0
	s_or_b32 s15, vcc_lo, s15
	s_andn2_b32 exec_lo, exec_lo, s15
	s_cbranch_execnz .LBB3_1106
.LBB3_1107:
	s_or_b32 exec_lo, exec_lo, s14
	v_mov_b32_e32 v3, 0
	s_mov_b32 s15, exec_lo
	s_mov_b32 s14, exec_lo
	v_mbcnt_lo_u32_b32 v2, s15, 0
	global_load_dwordx2 v[0:1], v3, s[26:27] offset:16
	v_cmpx_eq_u32_e32 0, v2
	s_cbranch_execz .LBB3_1109
; %bb.1108:
	s_bcnt1_i32_b32 s15, s15
	v_mov_b32_e32 v2, s15
	s_waitcnt vmcnt(0)
	global_atomic_add_x2 v[0:1], v[2:3], off offset:8
.LBB3_1109:
	s_or_b32 exec_lo, exec_lo, s14
	s_waitcnt vmcnt(0)
	global_load_dwordx2 v[2:3], v[0:1], off offset:16
	s_waitcnt vmcnt(0)
	v_cmp_eq_u64_e32 vcc_lo, 0, v[2:3]
	s_cbranch_vccnz .LBB3_1111
; %bb.1110:
	global_load_dword v0, v[0:1], off offset:24
	v_mov_b32_e32 v1, 0
	s_waitcnt vmcnt(0)
	v_and_b32_e32 v4, 0x7fffff, v0
	s_waitcnt_vscnt null, 0x0
	global_store_dwordx2 v[2:3], v[0:1], off
	v_readfirstlane_b32 m0, v4
	s_sendmsg sendmsg(MSG_INTERRUPT)
.LBB3_1111:
	s_or_b32 exec_lo, exec_lo, s5
	s_branch .LBB3_1115
	.p2align	6
.LBB3_1112:                             ;   in Loop: Header=BB3_1115 Depth=1
	s_or_b32 exec_lo, exec_lo, s5
	v_readfirstlane_b32 s5, v0
	s_cmp_eq_u32 s5, 0
	s_cbranch_scc1 .LBB3_1114
; %bb.1113:                             ;   in Loop: Header=BB3_1115 Depth=1
	s_sleep 1
	s_cbranch_execnz .LBB3_1115
	s_branch .LBB3_1117
	.p2align	6
.LBB3_1114:
	s_branch .LBB3_1117
.LBB3_1115:                             ; =>This Inner Loop Header: Depth=1
	v_mov_b32_e32 v0, 1
	s_and_saveexec_b32 s5, s4
	s_cbranch_execz .LBB3_1112
; %bb.1116:                             ;   in Loop: Header=BB3_1115 Depth=1
	global_load_dword v0, v[10:11], off offset:20 glc dlc
	s_waitcnt vmcnt(0)
	buffer_gl1_inv
	buffer_gl0_inv
	v_and_b32_e32 v0, 1, v0
	s_branch .LBB3_1112
.LBB3_1117:
	s_and_saveexec_b32 s5, s4
	s_cbranch_execz .LBB3_1121
; %bb.1118:
	v_mov_b32_e32 v6, 0
	s_clause 0x2
	global_load_dwordx2 v[2:3], v6, s[26:27] offset:40
	global_load_dwordx2 v[7:8], v6, s[26:27] offset:24 glc dlc
	global_load_dwordx2 v[4:5], v6, s[26:27]
	s_waitcnt vmcnt(2)
	v_add_co_u32 v9, vcc_lo, v2, 1
	v_add_co_ci_u32_e32 v10, vcc_lo, 0, v3, vcc_lo
	v_add_co_u32 v0, vcc_lo, v9, s8
	v_add_co_ci_u32_e32 v1, vcc_lo, s9, v10, vcc_lo
	v_cmp_eq_u64_e32 vcc_lo, 0, v[0:1]
	v_cndmask_b32_e32 v1, v1, v10, vcc_lo
	v_cndmask_b32_e32 v0, v0, v9, vcc_lo
	v_and_b32_e32 v3, v1, v3
	v_and_b32_e32 v2, v0, v2
	v_mul_lo_u32 v3, v3, 24
	v_mul_hi_u32 v9, v2, 24
	v_mul_lo_u32 v2, v2, 24
	v_add_nc_u32_e32 v3, v9, v3
	s_waitcnt vmcnt(0)
	v_add_co_u32 v4, vcc_lo, v4, v2
	v_mov_b32_e32 v2, v7
	v_add_co_ci_u32_e32 v5, vcc_lo, v5, v3, vcc_lo
	v_mov_b32_e32 v3, v8
	global_store_dwordx2 v[4:5], v[7:8], off
	s_waitcnt_vscnt null, 0x0
	global_atomic_cmpswap_x2 v[2:3], v6, v[0:3], s[26:27] offset:24 glc
	s_waitcnt vmcnt(0)
	v_cmp_ne_u64_e32 vcc_lo, v[2:3], v[7:8]
	s_and_b32 exec_lo, exec_lo, vcc_lo
	s_cbranch_execz .LBB3_1121
; %bb.1119:
	s_mov_b32 s4, 0
.LBB3_1120:                             ; =>This Inner Loop Header: Depth=1
	s_sleep 1
	global_store_dwordx2 v[4:5], v[2:3], off
	s_waitcnt_vscnt null, 0x0
	global_atomic_cmpswap_x2 v[7:8], v6, v[0:3], s[26:27] offset:24 glc
	s_waitcnt vmcnt(0)
	v_cmp_eq_u64_e32 vcc_lo, v[7:8], v[2:3]
	v_mov_b32_e32 v2, v7
	v_mov_b32_e32 v3, v8
	s_or_b32 s4, vcc_lo, s4
	s_andn2_b32 exec_lo, exec_lo, s4
	s_cbranch_execnz .LBB3_1120
.LBB3_1121:
	s_or_b32 exec_lo, exec_lo, s5
	v_readfirstlane_b32 s4, v37
	v_mov_b32_e32 v6, 0
	v_mov_b32_e32 v7, 0
	v_cmp_eq_u32_e64 s4, s4, v37
	s_and_saveexec_b32 s5, s4
	s_cbranch_execz .LBB3_1127
; %bb.1122:
	v_mov_b32_e32 v0, 0
	s_mov_b32 s8, exec_lo
	global_load_dwordx2 v[3:4], v0, s[26:27] offset:24 glc dlc
	s_waitcnt vmcnt(0)
	buffer_gl1_inv
	buffer_gl0_inv
	s_clause 0x1
	global_load_dwordx2 v[1:2], v0, s[26:27] offset:40
	global_load_dwordx2 v[5:6], v0, s[26:27]
	s_waitcnt vmcnt(1)
	v_and_b32_e32 v2, v2, v4
	v_and_b32_e32 v1, v1, v3
	v_mul_lo_u32 v2, v2, 24
	v_mul_hi_u32 v7, v1, 24
	v_mul_lo_u32 v1, v1, 24
	v_add_nc_u32_e32 v2, v7, v2
	s_waitcnt vmcnt(0)
	v_add_co_u32 v1, vcc_lo, v5, v1
	v_add_co_ci_u32_e32 v2, vcc_lo, v6, v2, vcc_lo
	global_load_dwordx2 v[1:2], v[1:2], off glc dlc
	s_waitcnt vmcnt(0)
	global_atomic_cmpswap_x2 v[6:7], v0, v[1:4], s[26:27] offset:24 glc
	s_waitcnt vmcnt(0)
	buffer_gl1_inv
	buffer_gl0_inv
	v_cmpx_ne_u64_e64 v[6:7], v[3:4]
	s_cbranch_execz .LBB3_1126
; %bb.1123:
	s_mov_b32 s9, 0
	.p2align	6
.LBB3_1124:                             ; =>This Inner Loop Header: Depth=1
	s_sleep 1
	s_clause 0x1
	global_load_dwordx2 v[1:2], v0, s[26:27] offset:40
	global_load_dwordx2 v[8:9], v0, s[26:27]
	v_mov_b32_e32 v3, v6
	v_mov_b32_e32 v4, v7
	s_waitcnt vmcnt(1)
	v_and_b32_e32 v1, v1, v3
	v_and_b32_e32 v2, v2, v4
	s_waitcnt vmcnt(0)
	v_mad_u64_u32 v[5:6], null, v1, 24, v[8:9]
	v_mov_b32_e32 v1, v6
	v_mad_u64_u32 v[1:2], null, v2, 24, v[1:2]
	v_mov_b32_e32 v6, v1
	global_load_dwordx2 v[1:2], v[5:6], off glc dlc
	s_waitcnt vmcnt(0)
	global_atomic_cmpswap_x2 v[6:7], v0, v[1:4], s[26:27] offset:24 glc
	s_waitcnt vmcnt(0)
	buffer_gl1_inv
	buffer_gl0_inv
	v_cmp_eq_u64_e32 vcc_lo, v[6:7], v[3:4]
	s_or_b32 s9, vcc_lo, s9
	s_andn2_b32 exec_lo, exec_lo, s9
	s_cbranch_execnz .LBB3_1124
; %bb.1125:
	s_or_b32 exec_lo, exec_lo, s9
.LBB3_1126:
	s_or_b32 exec_lo, exec_lo, s8
.LBB3_1127:
	s_or_b32 exec_lo, exec_lo, s5
	v_mov_b32_e32 v5, 0
	v_readfirstlane_b32 s8, v6
	v_readfirstlane_b32 s9, v7
	s_mov_b32 s5, exec_lo
	s_clause 0x1
	global_load_dwordx2 v[8:9], v5, s[26:27] offset:40
	global_load_dwordx4 v[0:3], v5, s[26:27]
	s_waitcnt vmcnt(1)
	v_readfirstlane_b32 s14, v8
	v_readfirstlane_b32 s15, v9
	s_and_b64 s[14:15], s[8:9], s[14:15]
	s_mul_i32 s16, s15, 24
	s_mul_hi_u32 s17, s14, 24
	s_mul_i32 s18, s14, 24
	s_add_i32 s17, s17, s16
	s_waitcnt vmcnt(0)
	v_add_co_u32 v8, vcc_lo, v0, s18
	v_add_co_ci_u32_e32 v9, vcc_lo, s17, v1, vcc_lo
	s_and_saveexec_b32 s16, s4
	s_cbranch_execz .LBB3_1129
; %bb.1128:
	v_mov_b32_e32 v4, s5
	v_mov_b32_e32 v6, 2
	;; [unrolled: 1-line block ×3, first 2 shown]
	global_store_dwordx4 v[8:9], v[4:7], off offset:8
.LBB3_1129:
	s_or_b32 exec_lo, exec_lo, s16
	s_lshl_b64 s[14:15], s[14:15], 12
	s_mov_b32 s16, 0
	v_add_co_u32 v2, vcc_lo, v2, s14
	v_add_co_ci_u32_e32 v3, vcc_lo, s15, v3, vcc_lo
	s_mov_b32 s17, s16
	v_add_co_u32 v10, vcc_lo, v2, v36
	s_mov_b32 s18, s16
	s_mov_b32 s19, s16
	v_mov_b32_e32 v4, 33
	v_mov_b32_e32 v6, v5
	;; [unrolled: 1-line block ×3, first 2 shown]
	v_readfirstlane_b32 s14, v2
	v_readfirstlane_b32 s15, v3
	v_mov_b32_e32 v12, s16
	v_add_co_ci_u32_e32 v11, vcc_lo, 0, v3, vcc_lo
	v_mov_b32_e32 v13, s17
	v_mov_b32_e32 v14, s18
	;; [unrolled: 1-line block ×3, first 2 shown]
	global_store_dwordx4 v36, v[4:7], s[14:15]
	global_store_dwordx4 v36, v[12:15], s[14:15] offset:16
	global_store_dwordx4 v36, v[12:15], s[14:15] offset:32
	;; [unrolled: 1-line block ×3, first 2 shown]
	s_and_saveexec_b32 s5, s4
	s_cbranch_execz .LBB3_1137
; %bb.1130:
	v_mov_b32_e32 v6, 0
	v_mov_b32_e32 v12, s8
	;; [unrolled: 1-line block ×3, first 2 shown]
	s_clause 0x1
	global_load_dwordx2 v[14:15], v6, s[26:27] offset:32 glc dlc
	global_load_dwordx2 v[2:3], v6, s[26:27] offset:40
	s_waitcnt vmcnt(0)
	v_readfirstlane_b32 s14, v2
	v_readfirstlane_b32 s15, v3
	s_and_b64 s[14:15], s[14:15], s[8:9]
	s_mul_i32 s15, s15, 24
	s_mul_hi_u32 s16, s14, 24
	s_mul_i32 s14, s14, 24
	s_add_i32 s16, s16, s15
	v_add_co_u32 v4, vcc_lo, v0, s14
	v_add_co_ci_u32_e32 v5, vcc_lo, s16, v1, vcc_lo
	s_mov_b32 s14, exec_lo
	global_store_dwordx2 v[4:5], v[14:15], off
	s_waitcnt_vscnt null, 0x0
	global_atomic_cmpswap_x2 v[2:3], v6, v[12:15], s[26:27] offset:32 glc
	s_waitcnt vmcnt(0)
	v_cmpx_ne_u64_e64 v[2:3], v[14:15]
	s_cbranch_execz .LBB3_1133
; %bb.1131:
	s_mov_b32 s15, 0
.LBB3_1132:                             ; =>This Inner Loop Header: Depth=1
	v_mov_b32_e32 v0, s8
	v_mov_b32_e32 v1, s9
	s_sleep 1
	global_store_dwordx2 v[4:5], v[2:3], off
	s_waitcnt_vscnt null, 0x0
	global_atomic_cmpswap_x2 v[0:1], v6, v[0:3], s[26:27] offset:32 glc
	s_waitcnt vmcnt(0)
	v_cmp_eq_u64_e32 vcc_lo, v[0:1], v[2:3]
	v_mov_b32_e32 v3, v1
	v_mov_b32_e32 v2, v0
	s_or_b32 s15, vcc_lo, s15
	s_andn2_b32 exec_lo, exec_lo, s15
	s_cbranch_execnz .LBB3_1132
.LBB3_1133:
	s_or_b32 exec_lo, exec_lo, s14
	v_mov_b32_e32 v3, 0
	s_mov_b32 s15, exec_lo
	s_mov_b32 s14, exec_lo
	v_mbcnt_lo_u32_b32 v2, s15, 0
	global_load_dwordx2 v[0:1], v3, s[26:27] offset:16
	v_cmpx_eq_u32_e32 0, v2
	s_cbranch_execz .LBB3_1135
; %bb.1134:
	s_bcnt1_i32_b32 s15, s15
	v_mov_b32_e32 v2, s15
	s_waitcnt vmcnt(0)
	global_atomic_add_x2 v[0:1], v[2:3], off offset:8
.LBB3_1135:
	s_or_b32 exec_lo, exec_lo, s14
	s_waitcnt vmcnt(0)
	global_load_dwordx2 v[2:3], v[0:1], off offset:16
	s_waitcnt vmcnt(0)
	v_cmp_eq_u64_e32 vcc_lo, 0, v[2:3]
	s_cbranch_vccnz .LBB3_1137
; %bb.1136:
	global_load_dword v0, v[0:1], off offset:24
	v_mov_b32_e32 v1, 0
	s_waitcnt vmcnt(0)
	v_and_b32_e32 v4, 0x7fffff, v0
	s_waitcnt_vscnt null, 0x0
	global_store_dwordx2 v[2:3], v[0:1], off
	v_readfirstlane_b32 m0, v4
	s_sendmsg sendmsg(MSG_INTERRUPT)
.LBB3_1137:
	s_or_b32 exec_lo, exec_lo, s5
	s_branch .LBB3_1141
	.p2align	6
.LBB3_1138:                             ;   in Loop: Header=BB3_1141 Depth=1
	s_or_b32 exec_lo, exec_lo, s5
	v_readfirstlane_b32 s5, v0
	s_cmp_eq_u32 s5, 0
	s_cbranch_scc1 .LBB3_1140
; %bb.1139:                             ;   in Loop: Header=BB3_1141 Depth=1
	s_sleep 1
	s_cbranch_execnz .LBB3_1141
	s_branch .LBB3_1143
	.p2align	6
.LBB3_1140:
	s_branch .LBB3_1143
.LBB3_1141:                             ; =>This Inner Loop Header: Depth=1
	v_mov_b32_e32 v0, 1
	s_and_saveexec_b32 s5, s4
	s_cbranch_execz .LBB3_1138
; %bb.1142:                             ;   in Loop: Header=BB3_1141 Depth=1
	global_load_dword v0, v[8:9], off offset:20 glc dlc
	s_waitcnt vmcnt(0)
	buffer_gl1_inv
	buffer_gl0_inv
	v_and_b32_e32 v0, 1, v0
	s_branch .LBB3_1138
.LBB3_1143:
	global_load_dwordx2 v[0:1], v[10:11], off
	s_and_saveexec_b32 s5, s4
	s_cbranch_execz .LBB3_1147
; %bb.1144:
	v_mov_b32_e32 v8, 0
	s_clause 0x2
	global_load_dwordx2 v[4:5], v8, s[26:27] offset:40
	global_load_dwordx2 v[9:10], v8, s[26:27] offset:24 glc dlc
	global_load_dwordx2 v[6:7], v8, s[26:27]
	s_waitcnt vmcnt(2)
	v_add_co_u32 v11, vcc_lo, v4, 1
	v_add_co_ci_u32_e32 v12, vcc_lo, 0, v5, vcc_lo
	v_add_co_u32 v2, vcc_lo, v11, s8
	v_add_co_ci_u32_e32 v3, vcc_lo, s9, v12, vcc_lo
	v_cmp_eq_u64_e32 vcc_lo, 0, v[2:3]
	v_cndmask_b32_e32 v3, v3, v12, vcc_lo
	v_cndmask_b32_e32 v2, v2, v11, vcc_lo
	v_and_b32_e32 v5, v3, v5
	v_and_b32_e32 v4, v2, v4
	v_mul_lo_u32 v5, v5, 24
	v_mul_hi_u32 v11, v4, 24
	v_mul_lo_u32 v4, v4, 24
	v_add_nc_u32_e32 v5, v11, v5
	s_waitcnt vmcnt(0)
	v_add_co_u32 v6, vcc_lo, v6, v4
	v_mov_b32_e32 v4, v9
	v_add_co_ci_u32_e32 v7, vcc_lo, v7, v5, vcc_lo
	v_mov_b32_e32 v5, v10
	global_store_dwordx2 v[6:7], v[9:10], off
	s_waitcnt_vscnt null, 0x0
	global_atomic_cmpswap_x2 v[4:5], v8, v[2:5], s[26:27] offset:24 glc
	s_waitcnt vmcnt(0)
	v_cmp_ne_u64_e32 vcc_lo, v[4:5], v[9:10]
	s_and_b32 exec_lo, exec_lo, vcc_lo
	s_cbranch_execz .LBB3_1147
; %bb.1145:
	s_mov_b32 s4, 0
.LBB3_1146:                             ; =>This Inner Loop Header: Depth=1
	s_sleep 1
	global_store_dwordx2 v[6:7], v[4:5], off
	s_waitcnt_vscnt null, 0x0
	global_atomic_cmpswap_x2 v[9:10], v8, v[2:5], s[26:27] offset:24 glc
	s_waitcnt vmcnt(0)
	v_cmp_eq_u64_e32 vcc_lo, v[9:10], v[4:5]
	v_mov_b32_e32 v4, v9
	v_mov_b32_e32 v5, v10
	s_or_b32 s4, vcc_lo, s4
	s_andn2_b32 exec_lo, exec_lo, s4
	s_cbranch_execnz .LBB3_1146
.LBB3_1147:
	s_or_b32 exec_lo, exec_lo, s5
	s_and_b32 vcc_lo, exec_lo, s35
	s_cbranch_vccz .LBB3_1226
; %bb.1148:
	s_waitcnt vmcnt(0)
	v_and_b32_e32 v31, 2, v0
	v_mov_b32_e32 v6, 0
	v_and_b32_e32 v2, -3, v0
	v_mov_b32_e32 v3, v1
	v_mov_b32_e32 v7, 2
	v_mov_b32_e32 v8, 1
	s_mov_b64 s[14:15], 3
	s_getpc_b64 s[8:9]
	s_add_u32 s8, s8, .str.6@rel32@lo+4
	s_addc_u32 s9, s9, .str.6@rel32@hi+12
	s_branch .LBB3_1150
.LBB3_1149:                             ;   in Loop: Header=BB3_1150 Depth=1
	s_or_b32 exec_lo, exec_lo, s5
	s_sub_u32 s14, s14, s16
	s_subb_u32 s15, s15, s17
	s_add_u32 s8, s8, s16
	s_addc_u32 s9, s9, s17
	s_cmp_lg_u64 s[14:15], 0
	s_cbranch_scc0 .LBB3_1225
.LBB3_1150:                             ; =>This Loop Header: Depth=1
                                        ;     Child Loop BB3_1159 Depth 2
                                        ;     Child Loop BB3_1155 Depth 2
                                        ;     Child Loop BB3_1167 Depth 2
                                        ;     Child Loop BB3_1174 Depth 2
                                        ;     Child Loop BB3_1181 Depth 2
                                        ;     Child Loop BB3_1188 Depth 2
                                        ;     Child Loop BB3_1195 Depth 2
                                        ;     Child Loop BB3_1202 Depth 2
                                        ;     Child Loop BB3_1210 Depth 2
                                        ;     Child Loop BB3_1219 Depth 2
                                        ;     Child Loop BB3_1224 Depth 2
	v_cmp_lt_u64_e64 s4, s[14:15], 56
	v_cmp_gt_u64_e64 s5, s[14:15], 7
                                        ; implicit-def: $vgpr11_vgpr12
                                        ; implicit-def: $sgpr23
	s_and_b32 s4, s4, exec_lo
	s_cselect_b32 s17, s15, 0
	s_cselect_b32 s16, s14, 56
	s_and_b32 vcc_lo, exec_lo, s5
	s_mov_b32 s4, -1
	s_cbranch_vccz .LBB3_1157
; %bb.1151:                             ;   in Loop: Header=BB3_1150 Depth=1
	s_andn2_b32 vcc_lo, exec_lo, s4
	s_mov_b64 s[4:5], s[8:9]
	s_cbranch_vccz .LBB3_1161
.LBB3_1152:                             ;   in Loop: Header=BB3_1150 Depth=1
	s_cmp_gt_u32 s23, 7
	s_cbranch_scc1 .LBB3_1162
.LBB3_1153:                             ;   in Loop: Header=BB3_1150 Depth=1
	v_mov_b32_e32 v13, 0
	v_mov_b32_e32 v14, 0
	s_cmp_eq_u32 s23, 0
	s_cbranch_scc1 .LBB3_1156
; %bb.1154:                             ;   in Loop: Header=BB3_1150 Depth=1
	s_mov_b64 s[18:19], 0
	s_mov_b64 s[20:21], 0
.LBB3_1155:                             ;   Parent Loop BB3_1150 Depth=1
                                        ; =>  This Inner Loop Header: Depth=2
	s_add_u32 s24, s4, s20
	s_addc_u32 s25, s5, s21
	s_add_u32 s20, s20, 1
	global_load_ubyte v4, v6, s[24:25]
	s_addc_u32 s21, s21, 0
	s_waitcnt vmcnt(0)
	v_and_b32_e32 v5, 0xffff, v4
	v_lshlrev_b64 v[4:5], s18, v[5:6]
	s_add_u32 s18, s18, 8
	s_addc_u32 s19, s19, 0
	s_cmp_lg_u32 s23, s20
	v_or_b32_e32 v13, v4, v13
	v_or_b32_e32 v14, v5, v14
	s_cbranch_scc1 .LBB3_1155
.LBB3_1156:                             ;   in Loop: Header=BB3_1150 Depth=1
	s_mov_b32 s24, 0
	s_cbranch_execz .LBB3_1163
	s_branch .LBB3_1164
.LBB3_1157:                             ;   in Loop: Header=BB3_1150 Depth=1
	v_mov_b32_e32 v11, 0
	v_mov_b32_e32 v12, 0
	s_cmp_eq_u64 s[14:15], 0
	s_mov_b64 s[4:5], 0
	s_cbranch_scc1 .LBB3_1160
; %bb.1158:                             ;   in Loop: Header=BB3_1150 Depth=1
	v_mov_b32_e32 v11, 0
	v_mov_b32_e32 v12, 0
	s_lshl_b64 s[18:19], s[16:17], 3
	s_mov_b64 s[20:21], s[8:9]
.LBB3_1159:                             ;   Parent Loop BB3_1150 Depth=1
                                        ; =>  This Inner Loop Header: Depth=2
	global_load_ubyte v4, v6, s[20:21]
	s_waitcnt vmcnt(0)
	v_and_b32_e32 v5, 0xffff, v4
	v_lshlrev_b64 v[4:5], s4, v[5:6]
	s_add_u32 s4, s4, 8
	s_addc_u32 s5, s5, 0
	s_add_u32 s20, s20, 1
	s_addc_u32 s21, s21, 0
	s_cmp_lg_u32 s18, s4
	v_or_b32_e32 v11, v4, v11
	v_or_b32_e32 v12, v5, v12
	s_cbranch_scc1 .LBB3_1159
.LBB3_1160:                             ;   in Loop: Header=BB3_1150 Depth=1
	s_mov_b32 s23, 0
	s_mov_b64 s[4:5], s[8:9]
	s_cbranch_execnz .LBB3_1152
.LBB3_1161:                             ;   in Loop: Header=BB3_1150 Depth=1
	global_load_dwordx2 v[11:12], v6, s[8:9]
	s_add_i32 s23, s16, -8
	s_add_u32 s4, s8, 8
	s_addc_u32 s5, s9, 0
	s_cmp_gt_u32 s23, 7
	s_cbranch_scc0 .LBB3_1153
.LBB3_1162:                             ;   in Loop: Header=BB3_1150 Depth=1
                                        ; implicit-def: $vgpr13_vgpr14
                                        ; implicit-def: $sgpr24
.LBB3_1163:                             ;   in Loop: Header=BB3_1150 Depth=1
	global_load_dwordx2 v[13:14], v6, s[4:5]
	s_add_i32 s24, s23, -8
	s_add_u32 s4, s4, 8
	s_addc_u32 s5, s5, 0
.LBB3_1164:                             ;   in Loop: Header=BB3_1150 Depth=1
	s_cmp_gt_u32 s24, 7
	s_cbranch_scc1 .LBB3_1169
; %bb.1165:                             ;   in Loop: Header=BB3_1150 Depth=1
	v_mov_b32_e32 v15, 0
	v_mov_b32_e32 v16, 0
	s_cmp_eq_u32 s24, 0
	s_cbranch_scc1 .LBB3_1168
; %bb.1166:                             ;   in Loop: Header=BB3_1150 Depth=1
	s_mov_b64 s[18:19], 0
	s_mov_b64 s[20:21], 0
.LBB3_1167:                             ;   Parent Loop BB3_1150 Depth=1
                                        ; =>  This Inner Loop Header: Depth=2
	s_add_u32 s28, s4, s20
	s_addc_u32 s29, s5, s21
	s_add_u32 s20, s20, 1
	global_load_ubyte v4, v6, s[28:29]
	s_addc_u32 s21, s21, 0
	s_waitcnt vmcnt(0)
	v_and_b32_e32 v5, 0xffff, v4
	v_lshlrev_b64 v[4:5], s18, v[5:6]
	s_add_u32 s18, s18, 8
	s_addc_u32 s19, s19, 0
	s_cmp_lg_u32 s24, s20
	v_or_b32_e32 v15, v4, v15
	v_or_b32_e32 v16, v5, v16
	s_cbranch_scc1 .LBB3_1167
.LBB3_1168:                             ;   in Loop: Header=BB3_1150 Depth=1
	s_mov_b32 s23, 0
	s_cbranch_execz .LBB3_1170
	s_branch .LBB3_1171
.LBB3_1169:                             ;   in Loop: Header=BB3_1150 Depth=1
                                        ; implicit-def: $sgpr23
.LBB3_1170:                             ;   in Loop: Header=BB3_1150 Depth=1
	global_load_dwordx2 v[15:16], v6, s[4:5]
	s_add_i32 s23, s24, -8
	s_add_u32 s4, s4, 8
	s_addc_u32 s5, s5, 0
.LBB3_1171:                             ;   in Loop: Header=BB3_1150 Depth=1
	s_cmp_gt_u32 s23, 7
	s_cbranch_scc1 .LBB3_1176
; %bb.1172:                             ;   in Loop: Header=BB3_1150 Depth=1
	v_mov_b32_e32 v17, 0
	v_mov_b32_e32 v18, 0
	s_cmp_eq_u32 s23, 0
	s_cbranch_scc1 .LBB3_1175
; %bb.1173:                             ;   in Loop: Header=BB3_1150 Depth=1
	s_mov_b64 s[18:19], 0
	s_mov_b64 s[20:21], 0
.LBB3_1174:                             ;   Parent Loop BB3_1150 Depth=1
                                        ; =>  This Inner Loop Header: Depth=2
	s_add_u32 s24, s4, s20
	s_addc_u32 s25, s5, s21
	s_add_u32 s20, s20, 1
	global_load_ubyte v4, v6, s[24:25]
	s_addc_u32 s21, s21, 0
	s_waitcnt vmcnt(0)
	v_and_b32_e32 v5, 0xffff, v4
	v_lshlrev_b64 v[4:5], s18, v[5:6]
	s_add_u32 s18, s18, 8
	s_addc_u32 s19, s19, 0
	s_cmp_lg_u32 s23, s20
	v_or_b32_e32 v17, v4, v17
	v_or_b32_e32 v18, v5, v18
	s_cbranch_scc1 .LBB3_1174
.LBB3_1175:                             ;   in Loop: Header=BB3_1150 Depth=1
	s_mov_b32 s24, 0
	s_cbranch_execz .LBB3_1177
	s_branch .LBB3_1178
.LBB3_1176:                             ;   in Loop: Header=BB3_1150 Depth=1
                                        ; implicit-def: $vgpr17_vgpr18
                                        ; implicit-def: $sgpr24
.LBB3_1177:                             ;   in Loop: Header=BB3_1150 Depth=1
	global_load_dwordx2 v[17:18], v6, s[4:5]
	s_add_i32 s24, s23, -8
	s_add_u32 s4, s4, 8
	s_addc_u32 s5, s5, 0
.LBB3_1178:                             ;   in Loop: Header=BB3_1150 Depth=1
	s_cmp_gt_u32 s24, 7
	s_cbranch_scc1 .LBB3_1183
; %bb.1179:                             ;   in Loop: Header=BB3_1150 Depth=1
	v_mov_b32_e32 v19, 0
	v_mov_b32_e32 v20, 0
	s_cmp_eq_u32 s24, 0
	s_cbranch_scc1 .LBB3_1182
; %bb.1180:                             ;   in Loop: Header=BB3_1150 Depth=1
	s_mov_b64 s[18:19], 0
	s_mov_b64 s[20:21], 0
.LBB3_1181:                             ;   Parent Loop BB3_1150 Depth=1
                                        ; =>  This Inner Loop Header: Depth=2
	s_add_u32 s28, s4, s20
	s_addc_u32 s29, s5, s21
	s_add_u32 s20, s20, 1
	global_load_ubyte v4, v6, s[28:29]
	s_addc_u32 s21, s21, 0
	s_waitcnt vmcnt(0)
	v_and_b32_e32 v5, 0xffff, v4
	v_lshlrev_b64 v[4:5], s18, v[5:6]
	s_add_u32 s18, s18, 8
	s_addc_u32 s19, s19, 0
	s_cmp_lg_u32 s24, s20
	v_or_b32_e32 v19, v4, v19
	v_or_b32_e32 v20, v5, v20
	s_cbranch_scc1 .LBB3_1181
.LBB3_1182:                             ;   in Loop: Header=BB3_1150 Depth=1
	s_mov_b32 s23, 0
	s_cbranch_execz .LBB3_1184
	s_branch .LBB3_1185
.LBB3_1183:                             ;   in Loop: Header=BB3_1150 Depth=1
                                        ; implicit-def: $sgpr23
.LBB3_1184:                             ;   in Loop: Header=BB3_1150 Depth=1
	global_load_dwordx2 v[19:20], v6, s[4:5]
	s_add_i32 s23, s24, -8
	s_add_u32 s4, s4, 8
	s_addc_u32 s5, s5, 0
.LBB3_1185:                             ;   in Loop: Header=BB3_1150 Depth=1
	s_cmp_gt_u32 s23, 7
	s_cbranch_scc1 .LBB3_1190
; %bb.1186:                             ;   in Loop: Header=BB3_1150 Depth=1
	v_mov_b32_e32 v21, 0
	v_mov_b32_e32 v22, 0
	s_cmp_eq_u32 s23, 0
	s_cbranch_scc1 .LBB3_1189
; %bb.1187:                             ;   in Loop: Header=BB3_1150 Depth=1
	s_mov_b64 s[18:19], 0
	s_mov_b64 s[20:21], 0
.LBB3_1188:                             ;   Parent Loop BB3_1150 Depth=1
                                        ; =>  This Inner Loop Header: Depth=2
	s_add_u32 s24, s4, s20
	s_addc_u32 s25, s5, s21
	s_add_u32 s20, s20, 1
	global_load_ubyte v4, v6, s[24:25]
	s_addc_u32 s21, s21, 0
	s_waitcnt vmcnt(0)
	v_and_b32_e32 v5, 0xffff, v4
	v_lshlrev_b64 v[4:5], s18, v[5:6]
	s_add_u32 s18, s18, 8
	s_addc_u32 s19, s19, 0
	s_cmp_lg_u32 s23, s20
	v_or_b32_e32 v21, v4, v21
	v_or_b32_e32 v22, v5, v22
	s_cbranch_scc1 .LBB3_1188
.LBB3_1189:                             ;   in Loop: Header=BB3_1150 Depth=1
	s_mov_b32 s24, 0
	s_cbranch_execz .LBB3_1191
	s_branch .LBB3_1192
.LBB3_1190:                             ;   in Loop: Header=BB3_1150 Depth=1
                                        ; implicit-def: $vgpr21_vgpr22
                                        ; implicit-def: $sgpr24
.LBB3_1191:                             ;   in Loop: Header=BB3_1150 Depth=1
	global_load_dwordx2 v[21:22], v6, s[4:5]
	s_add_i32 s24, s23, -8
	s_add_u32 s4, s4, 8
	s_addc_u32 s5, s5, 0
.LBB3_1192:                             ;   in Loop: Header=BB3_1150 Depth=1
	s_cmp_gt_u32 s24, 7
	s_cbranch_scc1 .LBB3_1197
; %bb.1193:                             ;   in Loop: Header=BB3_1150 Depth=1
	v_mov_b32_e32 v23, 0
	v_mov_b32_e32 v24, 0
	s_cmp_eq_u32 s24, 0
	s_cbranch_scc1 .LBB3_1196
; %bb.1194:                             ;   in Loop: Header=BB3_1150 Depth=1
	s_mov_b64 s[18:19], 0
	s_mov_b64 s[20:21], s[4:5]
.LBB3_1195:                             ;   Parent Loop BB3_1150 Depth=1
                                        ; =>  This Inner Loop Header: Depth=2
	global_load_ubyte v4, v6, s[20:21]
	s_add_i32 s24, s24, -1
	s_waitcnt vmcnt(0)
	v_and_b32_e32 v5, 0xffff, v4
	v_lshlrev_b64 v[4:5], s18, v[5:6]
	s_add_u32 s18, s18, 8
	s_addc_u32 s19, s19, 0
	s_add_u32 s20, s20, 1
	s_addc_u32 s21, s21, 0
	s_cmp_lg_u32 s24, 0
	v_or_b32_e32 v23, v4, v23
	v_or_b32_e32 v24, v5, v24
	s_cbranch_scc1 .LBB3_1195
.LBB3_1196:                             ;   in Loop: Header=BB3_1150 Depth=1
	s_cbranch_execz .LBB3_1198
	s_branch .LBB3_1199
.LBB3_1197:                             ;   in Loop: Header=BB3_1150 Depth=1
.LBB3_1198:                             ;   in Loop: Header=BB3_1150 Depth=1
	global_load_dwordx2 v[23:24], v6, s[4:5]
.LBB3_1199:                             ;   in Loop: Header=BB3_1150 Depth=1
	v_readfirstlane_b32 s4, v37
	s_waitcnt vmcnt(0)
	v_mov_b32_e32 v4, 0
	v_mov_b32_e32 v5, 0
	v_cmp_eq_u32_e64 s4, s4, v37
	s_and_saveexec_b32 s5, s4
	s_cbranch_execz .LBB3_1205
; %bb.1200:                             ;   in Loop: Header=BB3_1150 Depth=1
	global_load_dwordx2 v[27:28], v6, s[26:27] offset:24 glc dlc
	s_waitcnt vmcnt(0)
	buffer_gl1_inv
	buffer_gl0_inv
	s_clause 0x1
	global_load_dwordx2 v[4:5], v6, s[26:27] offset:40
	global_load_dwordx2 v[9:10], v6, s[26:27]
	s_mov_b32 s18, exec_lo
	s_waitcnt vmcnt(1)
	v_and_b32_e32 v5, v5, v28
	v_and_b32_e32 v4, v4, v27
	v_mul_lo_u32 v5, v5, 24
	v_mul_hi_u32 v25, v4, 24
	v_mul_lo_u32 v4, v4, 24
	v_add_nc_u32_e32 v5, v25, v5
	s_waitcnt vmcnt(0)
	v_add_co_u32 v4, vcc_lo, v9, v4
	v_add_co_ci_u32_e32 v5, vcc_lo, v10, v5, vcc_lo
	global_load_dwordx2 v[25:26], v[4:5], off glc dlc
	s_waitcnt vmcnt(0)
	global_atomic_cmpswap_x2 v[4:5], v6, v[25:28], s[26:27] offset:24 glc
	s_waitcnt vmcnt(0)
	buffer_gl1_inv
	buffer_gl0_inv
	v_cmpx_ne_u64_e64 v[4:5], v[27:28]
	s_cbranch_execz .LBB3_1204
; %bb.1201:                             ;   in Loop: Header=BB3_1150 Depth=1
	s_mov_b32 s19, 0
	.p2align	6
.LBB3_1202:                             ;   Parent Loop BB3_1150 Depth=1
                                        ; =>  This Inner Loop Header: Depth=2
	s_sleep 1
	s_clause 0x1
	global_load_dwordx2 v[9:10], v6, s[26:27] offset:40
	global_load_dwordx2 v[25:26], v6, s[26:27]
	v_mov_b32_e32 v28, v5
	v_mov_b32_e32 v27, v4
	s_waitcnt vmcnt(1)
	v_and_b32_e32 v4, v9, v27
	v_and_b32_e32 v9, v10, v28
	s_waitcnt vmcnt(0)
	v_mad_u64_u32 v[4:5], null, v4, 24, v[25:26]
	v_mad_u64_u32 v[9:10], null, v9, 24, v[5:6]
	v_mov_b32_e32 v5, v9
	global_load_dwordx2 v[25:26], v[4:5], off glc dlc
	s_waitcnt vmcnt(0)
	global_atomic_cmpswap_x2 v[4:5], v6, v[25:28], s[26:27] offset:24 glc
	s_waitcnt vmcnt(0)
	buffer_gl1_inv
	buffer_gl0_inv
	v_cmp_eq_u64_e32 vcc_lo, v[4:5], v[27:28]
	s_or_b32 s19, vcc_lo, s19
	s_andn2_b32 exec_lo, exec_lo, s19
	s_cbranch_execnz .LBB3_1202
; %bb.1203:                             ;   in Loop: Header=BB3_1150 Depth=1
	s_or_b32 exec_lo, exec_lo, s19
.LBB3_1204:                             ;   in Loop: Header=BB3_1150 Depth=1
	s_or_b32 exec_lo, exec_lo, s18
.LBB3_1205:                             ;   in Loop: Header=BB3_1150 Depth=1
	s_or_b32 exec_lo, exec_lo, s5
	s_clause 0x1
	global_load_dwordx2 v[9:10], v6, s[26:27] offset:40
	global_load_dwordx4 v[25:28], v6, s[26:27]
	v_readfirstlane_b32 s18, v4
	v_readfirstlane_b32 s19, v5
	s_mov_b32 s5, exec_lo
	s_waitcnt vmcnt(1)
	v_readfirstlane_b32 s20, v9
	v_readfirstlane_b32 s21, v10
	s_and_b64 s[20:21], s[18:19], s[20:21]
	s_mul_i32 s23, s21, 24
	s_mul_hi_u32 s24, s20, 24
	s_mul_i32 s25, s20, 24
	s_add_i32 s24, s24, s23
	s_waitcnt vmcnt(0)
	v_add_co_u32 v29, vcc_lo, v25, s25
	v_add_co_ci_u32_e32 v30, vcc_lo, s24, v26, vcc_lo
	s_and_saveexec_b32 s23, s4
	s_cbranch_execz .LBB3_1207
; %bb.1206:                             ;   in Loop: Header=BB3_1150 Depth=1
	v_mov_b32_e32 v5, s5
	global_store_dwordx4 v[29:30], v[5:8], off offset:8
.LBB3_1207:                             ;   in Loop: Header=BB3_1150 Depth=1
	s_or_b32 exec_lo, exec_lo, s23
	s_lshl_b64 s[20:21], s[20:21], 12
	v_cmp_gt_u64_e64 vcc_lo, s[14:15], 56
	v_or_b32_e32 v5, v2, v31
	v_add_co_u32 v27, s5, v27, s20
	v_add_co_ci_u32_e64 v28, s5, s21, v28, s5
	s_lshl_b32 s5, s16, 2
	v_or_b32_e32 v4, 0, v3
	v_cndmask_b32_e32 v2, v5, v2, vcc_lo
	s_add_i32 s5, s5, 28
	v_readfirstlane_b32 s20, v27
	s_and_b32 s5, s5, 0x1e0
	v_cndmask_b32_e32 v10, v4, v3, vcc_lo
	v_readfirstlane_b32 s21, v28
	v_and_or_b32 v9, 0xffffff1f, v2, s5
	global_store_dwordx4 v36, v[9:12], s[20:21]
	global_store_dwordx4 v36, v[13:16], s[20:21] offset:16
	global_store_dwordx4 v36, v[17:20], s[20:21] offset:32
	;; [unrolled: 1-line block ×3, first 2 shown]
	s_and_saveexec_b32 s5, s4
	s_cbranch_execz .LBB3_1215
; %bb.1208:                             ;   in Loop: Header=BB3_1150 Depth=1
	s_clause 0x1
	global_load_dwordx2 v[13:14], v6, s[26:27] offset:32 glc dlc
	global_load_dwordx2 v[2:3], v6, s[26:27] offset:40
	v_mov_b32_e32 v11, s18
	v_mov_b32_e32 v12, s19
	s_waitcnt vmcnt(0)
	v_readfirstlane_b32 s20, v2
	v_readfirstlane_b32 s21, v3
	s_and_b64 s[20:21], s[20:21], s[18:19]
	s_mul_i32 s21, s21, 24
	s_mul_hi_u32 s23, s20, 24
	s_mul_i32 s20, s20, 24
	s_add_i32 s23, s23, s21
	v_add_co_u32 v9, vcc_lo, v25, s20
	v_add_co_ci_u32_e32 v10, vcc_lo, s23, v26, vcc_lo
	s_mov_b32 s20, exec_lo
	global_store_dwordx2 v[9:10], v[13:14], off
	s_waitcnt_vscnt null, 0x0
	global_atomic_cmpswap_x2 v[4:5], v6, v[11:14], s[26:27] offset:32 glc
	s_waitcnt vmcnt(0)
	v_cmpx_ne_u64_e64 v[4:5], v[13:14]
	s_cbranch_execz .LBB3_1211
; %bb.1209:                             ;   in Loop: Header=BB3_1150 Depth=1
	s_mov_b32 s21, 0
.LBB3_1210:                             ;   Parent Loop BB3_1150 Depth=1
                                        ; =>  This Inner Loop Header: Depth=2
	v_mov_b32_e32 v2, s18
	v_mov_b32_e32 v3, s19
	s_sleep 1
	global_store_dwordx2 v[9:10], v[4:5], off
	s_waitcnt_vscnt null, 0x0
	global_atomic_cmpswap_x2 v[2:3], v6, v[2:5], s[26:27] offset:32 glc
	s_waitcnt vmcnt(0)
	v_cmp_eq_u64_e32 vcc_lo, v[2:3], v[4:5]
	v_mov_b32_e32 v5, v3
	v_mov_b32_e32 v4, v2
	s_or_b32 s21, vcc_lo, s21
	s_andn2_b32 exec_lo, exec_lo, s21
	s_cbranch_execnz .LBB3_1210
.LBB3_1211:                             ;   in Loop: Header=BB3_1150 Depth=1
	s_or_b32 exec_lo, exec_lo, s20
	global_load_dwordx2 v[2:3], v6, s[26:27] offset:16
	s_mov_b32 s21, exec_lo
	s_mov_b32 s20, exec_lo
	v_mbcnt_lo_u32_b32 v4, s21, 0
	v_cmpx_eq_u32_e32 0, v4
	s_cbranch_execz .LBB3_1213
; %bb.1212:                             ;   in Loop: Header=BB3_1150 Depth=1
	s_bcnt1_i32_b32 s21, s21
	v_mov_b32_e32 v5, s21
	s_waitcnt vmcnt(0)
	global_atomic_add_x2 v[2:3], v[5:6], off offset:8
.LBB3_1213:                             ;   in Loop: Header=BB3_1150 Depth=1
	s_or_b32 exec_lo, exec_lo, s20
	s_waitcnt vmcnt(0)
	global_load_dwordx2 v[9:10], v[2:3], off offset:16
	s_waitcnt vmcnt(0)
	v_cmp_eq_u64_e32 vcc_lo, 0, v[9:10]
	s_cbranch_vccnz .LBB3_1215
; %bb.1214:                             ;   in Loop: Header=BB3_1150 Depth=1
	global_load_dword v5, v[2:3], off offset:24
	s_waitcnt vmcnt(0)
	v_and_b32_e32 v2, 0x7fffff, v5
	s_waitcnt_vscnt null, 0x0
	global_store_dwordx2 v[9:10], v[5:6], off
	v_readfirstlane_b32 m0, v2
	s_sendmsg sendmsg(MSG_INTERRUPT)
.LBB3_1215:                             ;   in Loop: Header=BB3_1150 Depth=1
	s_or_b32 exec_lo, exec_lo, s5
	v_add_co_u32 v2, vcc_lo, v27, v36
	v_add_co_ci_u32_e32 v3, vcc_lo, 0, v28, vcc_lo
	s_branch .LBB3_1219
	.p2align	6
.LBB3_1216:                             ;   in Loop: Header=BB3_1219 Depth=2
	s_or_b32 exec_lo, exec_lo, s5
	v_readfirstlane_b32 s5, v4
	s_cmp_eq_u32 s5, 0
	s_cbranch_scc1 .LBB3_1218
; %bb.1217:                             ;   in Loop: Header=BB3_1219 Depth=2
	s_sleep 1
	s_cbranch_execnz .LBB3_1219
	s_branch .LBB3_1221
	.p2align	6
.LBB3_1218:                             ;   in Loop: Header=BB3_1150 Depth=1
	s_branch .LBB3_1221
.LBB3_1219:                             ;   Parent Loop BB3_1150 Depth=1
                                        ; =>  This Inner Loop Header: Depth=2
	v_mov_b32_e32 v4, 1
	s_and_saveexec_b32 s5, s4
	s_cbranch_execz .LBB3_1216
; %bb.1220:                             ;   in Loop: Header=BB3_1219 Depth=2
	global_load_dword v4, v[29:30], off offset:20 glc dlc
	s_waitcnt vmcnt(0)
	buffer_gl1_inv
	buffer_gl0_inv
	v_and_b32_e32 v4, 1, v4
	s_branch .LBB3_1216
.LBB3_1221:                             ;   in Loop: Header=BB3_1150 Depth=1
	global_load_dwordx4 v[2:5], v[2:3], off
	s_and_saveexec_b32 s5, s4
	s_cbranch_execz .LBB3_1149
; %bb.1222:                             ;   in Loop: Header=BB3_1150 Depth=1
	s_clause 0x2
	global_load_dwordx2 v[4:5], v6, s[26:27] offset:40
	global_load_dwordx2 v[13:14], v6, s[26:27] offset:24 glc dlc
	global_load_dwordx2 v[11:12], v6, s[26:27]
	s_waitcnt vmcnt(2)
	v_add_co_u32 v15, vcc_lo, v4, 1
	v_add_co_ci_u32_e32 v16, vcc_lo, 0, v5, vcc_lo
	v_add_co_u32 v9, vcc_lo, v15, s18
	v_add_co_ci_u32_e32 v10, vcc_lo, s19, v16, vcc_lo
	v_cmp_eq_u64_e32 vcc_lo, 0, v[9:10]
	v_cndmask_b32_e32 v10, v10, v16, vcc_lo
	v_cndmask_b32_e32 v9, v9, v15, vcc_lo
	v_and_b32_e32 v5, v10, v5
	v_and_b32_e32 v4, v9, v4
	v_mul_lo_u32 v5, v5, 24
	v_mul_hi_u32 v15, v4, 24
	v_mul_lo_u32 v4, v4, 24
	v_add_nc_u32_e32 v5, v15, v5
	s_waitcnt vmcnt(0)
	v_add_co_u32 v4, vcc_lo, v11, v4
	v_mov_b32_e32 v11, v13
	v_add_co_ci_u32_e32 v5, vcc_lo, v12, v5, vcc_lo
	v_mov_b32_e32 v12, v14
	global_store_dwordx2 v[4:5], v[13:14], off
	s_waitcnt_vscnt null, 0x0
	global_atomic_cmpswap_x2 v[11:12], v6, v[9:12], s[26:27] offset:24 glc
	s_waitcnt vmcnt(0)
	v_cmp_ne_u64_e32 vcc_lo, v[11:12], v[13:14]
	s_and_b32 exec_lo, exec_lo, vcc_lo
	s_cbranch_execz .LBB3_1149
; %bb.1223:                             ;   in Loop: Header=BB3_1150 Depth=1
	s_mov_b32 s4, 0
.LBB3_1224:                             ;   Parent Loop BB3_1150 Depth=1
                                        ; =>  This Inner Loop Header: Depth=2
	s_sleep 1
	global_store_dwordx2 v[4:5], v[11:12], off
	s_waitcnt_vscnt null, 0x0
	global_atomic_cmpswap_x2 v[13:14], v6, v[9:12], s[26:27] offset:24 glc
	s_waitcnt vmcnt(0)
	v_cmp_eq_u64_e32 vcc_lo, v[13:14], v[11:12]
	v_mov_b32_e32 v11, v13
	v_mov_b32_e32 v12, v14
	s_or_b32 s4, vcc_lo, s4
	s_andn2_b32 exec_lo, exec_lo, s4
	s_cbranch_execnz .LBB3_1224
	s_branch .LBB3_1149
.LBB3_1225:
	s_branch .LBB3_1254
.LBB3_1226:
                                        ; implicit-def: $vgpr2_vgpr3
	s_cbranch_execz .LBB3_1254
; %bb.1227:
	v_readfirstlane_b32 s4, v37
	v_mov_b32_e32 v8, 0
	v_mov_b32_e32 v9, 0
	v_cmp_eq_u32_e64 s4, s4, v37
	s_and_saveexec_b32 s5, s4
	s_cbranch_execz .LBB3_1233
; %bb.1228:
	s_waitcnt vmcnt(0)
	v_mov_b32_e32 v2, 0
	s_mov_b32 s8, exec_lo
	global_load_dwordx2 v[5:6], v2, s[26:27] offset:24 glc dlc
	s_waitcnt vmcnt(0)
	buffer_gl1_inv
	buffer_gl0_inv
	s_clause 0x1
	global_load_dwordx2 v[3:4], v2, s[26:27] offset:40
	global_load_dwordx2 v[7:8], v2, s[26:27]
	s_waitcnt vmcnt(1)
	v_and_b32_e32 v4, v4, v6
	v_and_b32_e32 v3, v3, v5
	v_mul_lo_u32 v4, v4, 24
	v_mul_hi_u32 v9, v3, 24
	v_mul_lo_u32 v3, v3, 24
	v_add_nc_u32_e32 v4, v9, v4
	s_waitcnt vmcnt(0)
	v_add_co_u32 v3, vcc_lo, v7, v3
	v_add_co_ci_u32_e32 v4, vcc_lo, v8, v4, vcc_lo
	global_load_dwordx2 v[3:4], v[3:4], off glc dlc
	s_waitcnt vmcnt(0)
	global_atomic_cmpswap_x2 v[8:9], v2, v[3:6], s[26:27] offset:24 glc
	s_waitcnt vmcnt(0)
	buffer_gl1_inv
	buffer_gl0_inv
	v_cmpx_ne_u64_e64 v[8:9], v[5:6]
	s_cbranch_execz .LBB3_1232
; %bb.1229:
	s_mov_b32 s9, 0
	.p2align	6
.LBB3_1230:                             ; =>This Inner Loop Header: Depth=1
	s_sleep 1
	s_clause 0x1
	global_load_dwordx2 v[3:4], v2, s[26:27] offset:40
	global_load_dwordx2 v[10:11], v2, s[26:27]
	v_mov_b32_e32 v5, v8
	v_mov_b32_e32 v6, v9
	s_waitcnt vmcnt(1)
	v_and_b32_e32 v3, v3, v5
	v_and_b32_e32 v4, v4, v6
	s_waitcnt vmcnt(0)
	v_mad_u64_u32 v[7:8], null, v3, 24, v[10:11]
	v_mov_b32_e32 v3, v8
	v_mad_u64_u32 v[3:4], null, v4, 24, v[3:4]
	v_mov_b32_e32 v8, v3
	global_load_dwordx2 v[3:4], v[7:8], off glc dlc
	s_waitcnt vmcnt(0)
	global_atomic_cmpswap_x2 v[8:9], v2, v[3:6], s[26:27] offset:24 glc
	s_waitcnt vmcnt(0)
	buffer_gl1_inv
	buffer_gl0_inv
	v_cmp_eq_u64_e32 vcc_lo, v[8:9], v[5:6]
	s_or_b32 s9, vcc_lo, s9
	s_andn2_b32 exec_lo, exec_lo, s9
	s_cbranch_execnz .LBB3_1230
; %bb.1231:
	s_or_b32 exec_lo, exec_lo, s9
.LBB3_1232:
	s_or_b32 exec_lo, exec_lo, s8
.LBB3_1233:
	s_or_b32 exec_lo, exec_lo, s5
	s_waitcnt vmcnt(0)
	v_mov_b32_e32 v2, 0
	v_readfirstlane_b32 s8, v8
	v_readfirstlane_b32 s9, v9
	s_mov_b32 s5, exec_lo
	s_clause 0x1
	global_load_dwordx2 v[10:11], v2, s[26:27] offset:40
	global_load_dwordx4 v[4:7], v2, s[26:27]
	s_waitcnt vmcnt(1)
	v_readfirstlane_b32 s14, v10
	v_readfirstlane_b32 s15, v11
	s_and_b64 s[14:15], s[8:9], s[14:15]
	s_mul_i32 s16, s15, 24
	s_mul_hi_u32 s17, s14, 24
	s_mul_i32 s18, s14, 24
	s_add_i32 s17, s17, s16
	s_waitcnt vmcnt(0)
	v_add_co_u32 v8, vcc_lo, v4, s18
	v_add_co_ci_u32_e32 v9, vcc_lo, s17, v5, vcc_lo
	s_and_saveexec_b32 s16, s4
	s_cbranch_execz .LBB3_1235
; %bb.1234:
	v_mov_b32_e32 v10, s5
	v_mov_b32_e32 v11, v2
	;; [unrolled: 1-line block ×4, first 2 shown]
	global_store_dwordx4 v[8:9], v[10:13], off offset:8
.LBB3_1235:
	s_or_b32 exec_lo, exec_lo, s16
	s_lshl_b64 s[14:15], s[14:15], 12
	s_mov_b32 s16, 0
	v_add_co_u32 v6, vcc_lo, v6, s14
	v_add_co_ci_u32_e32 v7, vcc_lo, s15, v7, vcc_lo
	s_mov_b32 s17, s16
	v_readfirstlane_b32 s14, v6
	v_add_co_u32 v6, vcc_lo, v6, v36
	s_mov_b32 s18, s16
	s_mov_b32 s19, s16
	v_and_or_b32 v0, 0xffffff1f, v0, 32
	v_mov_b32_e32 v3, v2
	v_readfirstlane_b32 s15, v7
	v_mov_b32_e32 v10, s16
	v_add_co_ci_u32_e32 v7, vcc_lo, 0, v7, vcc_lo
	v_mov_b32_e32 v11, s17
	v_mov_b32_e32 v12, s18
	;; [unrolled: 1-line block ×3, first 2 shown]
	global_store_dwordx4 v36, v[0:3], s[14:15]
	global_store_dwordx4 v36, v[10:13], s[14:15] offset:16
	global_store_dwordx4 v36, v[10:13], s[14:15] offset:32
	;; [unrolled: 1-line block ×3, first 2 shown]
	s_and_saveexec_b32 s5, s4
	s_cbranch_execz .LBB3_1243
; %bb.1236:
	v_mov_b32_e32 v10, 0
	v_mov_b32_e32 v11, s8
	;; [unrolled: 1-line block ×3, first 2 shown]
	s_clause 0x1
	global_load_dwordx2 v[13:14], v10, s[26:27] offset:32 glc dlc
	global_load_dwordx2 v[0:1], v10, s[26:27] offset:40
	s_waitcnt vmcnt(0)
	v_readfirstlane_b32 s14, v0
	v_readfirstlane_b32 s15, v1
	s_and_b64 s[14:15], s[14:15], s[8:9]
	s_mul_i32 s15, s15, 24
	s_mul_hi_u32 s16, s14, 24
	s_mul_i32 s14, s14, 24
	s_add_i32 s16, s16, s15
	v_add_co_u32 v4, vcc_lo, v4, s14
	v_add_co_ci_u32_e32 v5, vcc_lo, s16, v5, vcc_lo
	s_mov_b32 s14, exec_lo
	global_store_dwordx2 v[4:5], v[13:14], off
	s_waitcnt_vscnt null, 0x0
	global_atomic_cmpswap_x2 v[2:3], v10, v[11:14], s[26:27] offset:32 glc
	s_waitcnt vmcnt(0)
	v_cmpx_ne_u64_e64 v[2:3], v[13:14]
	s_cbranch_execz .LBB3_1239
; %bb.1237:
	s_mov_b32 s15, 0
.LBB3_1238:                             ; =>This Inner Loop Header: Depth=1
	v_mov_b32_e32 v0, s8
	v_mov_b32_e32 v1, s9
	s_sleep 1
	global_store_dwordx2 v[4:5], v[2:3], off
	s_waitcnt_vscnt null, 0x0
	global_atomic_cmpswap_x2 v[0:1], v10, v[0:3], s[26:27] offset:32 glc
	s_waitcnt vmcnt(0)
	v_cmp_eq_u64_e32 vcc_lo, v[0:1], v[2:3]
	v_mov_b32_e32 v3, v1
	v_mov_b32_e32 v2, v0
	s_or_b32 s15, vcc_lo, s15
	s_andn2_b32 exec_lo, exec_lo, s15
	s_cbranch_execnz .LBB3_1238
.LBB3_1239:
	s_or_b32 exec_lo, exec_lo, s14
	v_mov_b32_e32 v3, 0
	s_mov_b32 s15, exec_lo
	s_mov_b32 s14, exec_lo
	v_mbcnt_lo_u32_b32 v2, s15, 0
	global_load_dwordx2 v[0:1], v3, s[26:27] offset:16
	v_cmpx_eq_u32_e32 0, v2
	s_cbranch_execz .LBB3_1241
; %bb.1240:
	s_bcnt1_i32_b32 s15, s15
	v_mov_b32_e32 v2, s15
	s_waitcnt vmcnt(0)
	global_atomic_add_x2 v[0:1], v[2:3], off offset:8
.LBB3_1241:
	s_or_b32 exec_lo, exec_lo, s14
	s_waitcnt vmcnt(0)
	global_load_dwordx2 v[2:3], v[0:1], off offset:16
	s_waitcnt vmcnt(0)
	v_cmp_eq_u64_e32 vcc_lo, 0, v[2:3]
	s_cbranch_vccnz .LBB3_1243
; %bb.1242:
	global_load_dword v0, v[0:1], off offset:24
	v_mov_b32_e32 v1, 0
	s_waitcnt vmcnt(0)
	v_and_b32_e32 v4, 0x7fffff, v0
	s_waitcnt_vscnt null, 0x0
	global_store_dwordx2 v[2:3], v[0:1], off
	v_readfirstlane_b32 m0, v4
	s_sendmsg sendmsg(MSG_INTERRUPT)
.LBB3_1243:
	s_or_b32 exec_lo, exec_lo, s5
	s_branch .LBB3_1247
	.p2align	6
.LBB3_1244:                             ;   in Loop: Header=BB3_1247 Depth=1
	s_or_b32 exec_lo, exec_lo, s5
	v_readfirstlane_b32 s5, v0
	s_cmp_eq_u32 s5, 0
	s_cbranch_scc1 .LBB3_1246
; %bb.1245:                             ;   in Loop: Header=BB3_1247 Depth=1
	s_sleep 1
	s_cbranch_execnz .LBB3_1247
	s_branch .LBB3_1249
	.p2align	6
.LBB3_1246:
	s_branch .LBB3_1249
.LBB3_1247:                             ; =>This Inner Loop Header: Depth=1
	v_mov_b32_e32 v0, 1
	s_and_saveexec_b32 s5, s4
	s_cbranch_execz .LBB3_1244
; %bb.1248:                             ;   in Loop: Header=BB3_1247 Depth=1
	global_load_dword v0, v[8:9], off offset:20 glc dlc
	s_waitcnt vmcnt(0)
	buffer_gl1_inv
	buffer_gl0_inv
	v_and_b32_e32 v0, 1, v0
	s_branch .LBB3_1244
.LBB3_1249:
	global_load_dwordx2 v[2:3], v[6:7], off
	s_and_saveexec_b32 s5, s4
	s_cbranch_execz .LBB3_1253
; %bb.1250:
	v_mov_b32_e32 v8, 0
	s_clause 0x2
	global_load_dwordx2 v[0:1], v8, s[26:27] offset:40
	global_load_dwordx2 v[9:10], v8, s[26:27] offset:24 glc dlc
	global_load_dwordx2 v[6:7], v8, s[26:27]
	s_waitcnt vmcnt(2)
	v_add_co_u32 v11, vcc_lo, v0, 1
	v_add_co_ci_u32_e32 v12, vcc_lo, 0, v1, vcc_lo
	v_add_co_u32 v4, vcc_lo, v11, s8
	v_add_co_ci_u32_e32 v5, vcc_lo, s9, v12, vcc_lo
	v_cmp_eq_u64_e32 vcc_lo, 0, v[4:5]
	v_cndmask_b32_e32 v5, v5, v12, vcc_lo
	v_cndmask_b32_e32 v4, v4, v11, vcc_lo
	v_and_b32_e32 v1, v5, v1
	v_and_b32_e32 v0, v4, v0
	v_mul_lo_u32 v1, v1, 24
	v_mul_hi_u32 v11, v0, 24
	v_mul_lo_u32 v0, v0, 24
	v_add_nc_u32_e32 v1, v11, v1
	s_waitcnt vmcnt(0)
	v_add_co_u32 v0, vcc_lo, v6, v0
	v_mov_b32_e32 v6, v9
	v_add_co_ci_u32_e32 v1, vcc_lo, v7, v1, vcc_lo
	v_mov_b32_e32 v7, v10
	global_store_dwordx2 v[0:1], v[9:10], off
	s_waitcnt_vscnt null, 0x0
	global_atomic_cmpswap_x2 v[6:7], v8, v[4:7], s[26:27] offset:24 glc
	s_waitcnt vmcnt(0)
	v_cmp_ne_u64_e32 vcc_lo, v[6:7], v[9:10]
	s_and_b32 exec_lo, exec_lo, vcc_lo
	s_cbranch_execz .LBB3_1253
; %bb.1251:
	s_mov_b32 s4, 0
.LBB3_1252:                             ; =>This Inner Loop Header: Depth=1
	s_sleep 1
	global_store_dwordx2 v[0:1], v[6:7], off
	s_waitcnt_vscnt null, 0x0
	global_atomic_cmpswap_x2 v[9:10], v8, v[4:7], s[26:27] offset:24 glc
	s_waitcnt vmcnt(0)
	v_cmp_eq_u64_e32 vcc_lo, v[9:10], v[6:7]
	v_mov_b32_e32 v6, v9
	v_mov_b32_e32 v7, v10
	s_or_b32 s4, vcc_lo, s4
	s_andn2_b32 exec_lo, exec_lo, s4
	s_cbranch_execnz .LBB3_1252
.LBB3_1253:
	s_or_b32 exec_lo, exec_lo, s5
.LBB3_1254:
	v_readfirstlane_b32 s4, v37
	s_waitcnt vmcnt(0)
	v_mov_b32_e32 v0, 0
	v_mov_b32_e32 v1, 0
	v_cmp_eq_u32_e64 s4, s4, v37
	s_and_saveexec_b32 s5, s4
	s_cbranch_execz .LBB3_1260
; %bb.1255:
	v_mov_b32_e32 v4, 0
	s_mov_b32 s8, exec_lo
	global_load_dwordx2 v[7:8], v4, s[26:27] offset:24 glc dlc
	s_waitcnt vmcnt(0)
	buffer_gl1_inv
	buffer_gl0_inv
	s_clause 0x1
	global_load_dwordx2 v[0:1], v4, s[26:27] offset:40
	global_load_dwordx2 v[5:6], v4, s[26:27]
	s_waitcnt vmcnt(1)
	v_and_b32_e32 v1, v1, v8
	v_and_b32_e32 v0, v0, v7
	v_mul_lo_u32 v1, v1, 24
	v_mul_hi_u32 v9, v0, 24
	v_mul_lo_u32 v0, v0, 24
	v_add_nc_u32_e32 v1, v9, v1
	s_waitcnt vmcnt(0)
	v_add_co_u32 v0, vcc_lo, v5, v0
	v_add_co_ci_u32_e32 v1, vcc_lo, v6, v1, vcc_lo
	global_load_dwordx2 v[5:6], v[0:1], off glc dlc
	s_waitcnt vmcnt(0)
	global_atomic_cmpswap_x2 v[0:1], v4, v[5:8], s[26:27] offset:24 glc
	s_waitcnt vmcnt(0)
	buffer_gl1_inv
	buffer_gl0_inv
	v_cmpx_ne_u64_e64 v[0:1], v[7:8]
	s_cbranch_execz .LBB3_1259
; %bb.1256:
	s_mov_b32 s9, 0
	.p2align	6
.LBB3_1257:                             ; =>This Inner Loop Header: Depth=1
	s_sleep 1
	s_clause 0x1
	global_load_dwordx2 v[5:6], v4, s[26:27] offset:40
	global_load_dwordx2 v[9:10], v4, s[26:27]
	v_mov_b32_e32 v8, v1
	v_mov_b32_e32 v7, v0
	s_waitcnt vmcnt(1)
	v_and_b32_e32 v0, v5, v7
	v_and_b32_e32 v5, v6, v8
	s_waitcnt vmcnt(0)
	v_mad_u64_u32 v[0:1], null, v0, 24, v[9:10]
	v_mad_u64_u32 v[5:6], null, v5, 24, v[1:2]
	v_mov_b32_e32 v1, v5
	global_load_dwordx2 v[5:6], v[0:1], off glc dlc
	s_waitcnt vmcnt(0)
	global_atomic_cmpswap_x2 v[0:1], v4, v[5:8], s[26:27] offset:24 glc
	s_waitcnt vmcnt(0)
	buffer_gl1_inv
	buffer_gl0_inv
	v_cmp_eq_u64_e32 vcc_lo, v[0:1], v[7:8]
	s_or_b32 s9, vcc_lo, s9
	s_andn2_b32 exec_lo, exec_lo, s9
	s_cbranch_execnz .LBB3_1257
; %bb.1258:
	s_or_b32 exec_lo, exec_lo, s9
.LBB3_1259:
	s_or_b32 exec_lo, exec_lo, s8
.LBB3_1260:
	s_or_b32 exec_lo, exec_lo, s5
	v_mov_b32_e32 v5, 0
	v_readfirstlane_b32 s8, v0
	v_readfirstlane_b32 s9, v1
	s_mov_b32 s5, exec_lo
	s_clause 0x1
	global_load_dwordx2 v[10:11], v5, s[26:27] offset:40
	global_load_dwordx4 v[6:9], v5, s[26:27]
	s_waitcnt vmcnt(1)
	v_readfirstlane_b32 s14, v10
	v_readfirstlane_b32 s15, v11
	s_and_b64 s[14:15], s[8:9], s[14:15]
	s_mul_i32 s16, s15, 24
	s_mul_hi_u32 s17, s14, 24
	s_mul_i32 s18, s14, 24
	s_add_i32 s17, s17, s16
	s_waitcnt vmcnt(0)
	v_add_co_u32 v10, vcc_lo, v6, s18
	v_add_co_ci_u32_e32 v11, vcc_lo, s17, v7, vcc_lo
	s_and_saveexec_b32 s16, s4
	s_cbranch_execz .LBB3_1262
; %bb.1261:
	v_mov_b32_e32 v4, s5
	v_mov_b32_e32 v13, v5
	v_mov_b32_e32 v14, 2
	v_mov_b32_e32 v15, 1
	v_mov_b32_e32 v12, v4
	global_store_dwordx4 v[10:11], v[12:15], off offset:8
.LBB3_1262:
	s_or_b32 exec_lo, exec_lo, s16
	s_lshl_b64 s[14:15], s[14:15], 12
	s_mov_b32 s16, 0
	v_add_co_u32 v0, vcc_lo, v8, s14
	v_add_co_ci_u32_e32 v1, vcc_lo, s15, v9, vcc_lo
	s_mov_b32 s17, s16
	s_mov_b32 s18, s16
	;; [unrolled: 1-line block ×3, first 2 shown]
	v_and_or_b32 v2, 0xffffff1d, v2, 34
	v_mov_b32_e32 v4, 10
	v_readfirstlane_b32 s14, v0
	v_readfirstlane_b32 s15, v1
	v_mov_b32_e32 v12, s16
	v_mov_b32_e32 v13, s17
	;; [unrolled: 1-line block ×4, first 2 shown]
	global_store_dwordx4 v36, v[2:5], s[14:15]
	global_store_dwordx4 v36, v[12:15], s[14:15] offset:16
	global_store_dwordx4 v36, v[12:15], s[14:15] offset:32
	;; [unrolled: 1-line block ×3, first 2 shown]
	s_and_saveexec_b32 s5, s4
	s_cbranch_execz .LBB3_1270
; %bb.1263:
	v_mov_b32_e32 v8, 0
	v_mov_b32_e32 v12, s8
	;; [unrolled: 1-line block ×3, first 2 shown]
	s_clause 0x1
	global_load_dwordx2 v[14:15], v8, s[26:27] offset:32 glc dlc
	global_load_dwordx2 v[0:1], v8, s[26:27] offset:40
	s_waitcnt vmcnt(0)
	v_readfirstlane_b32 s14, v0
	v_readfirstlane_b32 s15, v1
	s_and_b64 s[14:15], s[14:15], s[8:9]
	s_mul_i32 s15, s15, 24
	s_mul_hi_u32 s16, s14, 24
	s_mul_i32 s14, s14, 24
	s_add_i32 s16, s16, s15
	v_add_co_u32 v4, vcc_lo, v6, s14
	v_add_co_ci_u32_e32 v5, vcc_lo, s16, v7, vcc_lo
	s_mov_b32 s14, exec_lo
	global_store_dwordx2 v[4:5], v[14:15], off
	s_waitcnt_vscnt null, 0x0
	global_atomic_cmpswap_x2 v[2:3], v8, v[12:15], s[26:27] offset:32 glc
	s_waitcnt vmcnt(0)
	v_cmpx_ne_u64_e64 v[2:3], v[14:15]
	s_cbranch_execz .LBB3_1266
; %bb.1264:
	s_mov_b32 s15, 0
.LBB3_1265:                             ; =>This Inner Loop Header: Depth=1
	v_mov_b32_e32 v0, s8
	v_mov_b32_e32 v1, s9
	s_sleep 1
	global_store_dwordx2 v[4:5], v[2:3], off
	s_waitcnt_vscnt null, 0x0
	global_atomic_cmpswap_x2 v[0:1], v8, v[0:3], s[26:27] offset:32 glc
	s_waitcnt vmcnt(0)
	v_cmp_eq_u64_e32 vcc_lo, v[0:1], v[2:3]
	v_mov_b32_e32 v3, v1
	v_mov_b32_e32 v2, v0
	s_or_b32 s15, vcc_lo, s15
	s_andn2_b32 exec_lo, exec_lo, s15
	s_cbranch_execnz .LBB3_1265
.LBB3_1266:
	s_or_b32 exec_lo, exec_lo, s14
	v_mov_b32_e32 v3, 0
	s_mov_b32 s15, exec_lo
	s_mov_b32 s14, exec_lo
	v_mbcnt_lo_u32_b32 v2, s15, 0
	global_load_dwordx2 v[0:1], v3, s[26:27] offset:16
	v_cmpx_eq_u32_e32 0, v2
	s_cbranch_execz .LBB3_1268
; %bb.1267:
	s_bcnt1_i32_b32 s15, s15
	v_mov_b32_e32 v2, s15
	s_waitcnt vmcnt(0)
	global_atomic_add_x2 v[0:1], v[2:3], off offset:8
.LBB3_1268:
	s_or_b32 exec_lo, exec_lo, s14
	s_waitcnt vmcnt(0)
	global_load_dwordx2 v[2:3], v[0:1], off offset:16
	s_waitcnt vmcnt(0)
	v_cmp_eq_u64_e32 vcc_lo, 0, v[2:3]
	s_cbranch_vccnz .LBB3_1270
; %bb.1269:
	global_load_dword v0, v[0:1], off offset:24
	v_mov_b32_e32 v1, 0
	s_waitcnt vmcnt(0)
	v_and_b32_e32 v4, 0x7fffff, v0
	s_waitcnt_vscnt null, 0x0
	global_store_dwordx2 v[2:3], v[0:1], off
	v_readfirstlane_b32 m0, v4
	s_sendmsg sendmsg(MSG_INTERRUPT)
.LBB3_1270:
	s_or_b32 exec_lo, exec_lo, s5
	s_branch .LBB3_1274
	.p2align	6
.LBB3_1271:                             ;   in Loop: Header=BB3_1274 Depth=1
	s_or_b32 exec_lo, exec_lo, s5
	v_readfirstlane_b32 s5, v0
	s_cmp_eq_u32 s5, 0
	s_cbranch_scc1 .LBB3_1273
; %bb.1272:                             ;   in Loop: Header=BB3_1274 Depth=1
	s_sleep 1
	s_cbranch_execnz .LBB3_1274
	s_branch .LBB3_1276
	.p2align	6
.LBB3_1273:
	s_branch .LBB3_1276
.LBB3_1274:                             ; =>This Inner Loop Header: Depth=1
	v_mov_b32_e32 v0, 1
	s_and_saveexec_b32 s5, s4
	s_cbranch_execz .LBB3_1271
; %bb.1275:                             ;   in Loop: Header=BB3_1274 Depth=1
	global_load_dword v0, v[10:11], off offset:20 glc dlc
	s_waitcnt vmcnt(0)
	buffer_gl1_inv
	buffer_gl0_inv
	v_and_b32_e32 v0, 1, v0
	s_branch .LBB3_1271
.LBB3_1276:
	s_and_saveexec_b32 s5, s4
	s_cbranch_execz .LBB3_1280
; %bb.1277:
	v_mov_b32_e32 v6, 0
	s_clause 0x2
	global_load_dwordx2 v[2:3], v6, s[26:27] offset:40
	global_load_dwordx2 v[7:8], v6, s[26:27] offset:24 glc dlc
	global_load_dwordx2 v[4:5], v6, s[26:27]
	s_waitcnt vmcnt(2)
	v_add_co_u32 v9, vcc_lo, v2, 1
	v_add_co_ci_u32_e32 v10, vcc_lo, 0, v3, vcc_lo
	v_add_co_u32 v0, vcc_lo, v9, s8
	v_add_co_ci_u32_e32 v1, vcc_lo, s9, v10, vcc_lo
	v_cmp_eq_u64_e32 vcc_lo, 0, v[0:1]
	v_cndmask_b32_e32 v1, v1, v10, vcc_lo
	v_cndmask_b32_e32 v0, v0, v9, vcc_lo
	v_and_b32_e32 v3, v1, v3
	v_and_b32_e32 v2, v0, v2
	v_mul_lo_u32 v3, v3, 24
	v_mul_hi_u32 v9, v2, 24
	v_mul_lo_u32 v2, v2, 24
	v_add_nc_u32_e32 v3, v9, v3
	s_waitcnt vmcnt(0)
	v_add_co_u32 v4, vcc_lo, v4, v2
	v_mov_b32_e32 v2, v7
	v_add_co_ci_u32_e32 v5, vcc_lo, v5, v3, vcc_lo
	v_mov_b32_e32 v3, v8
	global_store_dwordx2 v[4:5], v[7:8], off
	s_waitcnt_vscnt null, 0x0
	global_atomic_cmpswap_x2 v[2:3], v6, v[0:3], s[26:27] offset:24 glc
	s_waitcnt vmcnt(0)
	v_cmp_ne_u64_e32 vcc_lo, v[2:3], v[7:8]
	s_and_b32 exec_lo, exec_lo, vcc_lo
	s_cbranch_execz .LBB3_1280
; %bb.1278:
	s_mov_b32 s4, 0
.LBB3_1279:                             ; =>This Inner Loop Header: Depth=1
	s_sleep 1
	global_store_dwordx2 v[4:5], v[2:3], off
	s_waitcnt_vscnt null, 0x0
	global_atomic_cmpswap_x2 v[7:8], v6, v[0:3], s[26:27] offset:24 glc
	s_waitcnt vmcnt(0)
	v_cmp_eq_u64_e32 vcc_lo, v[7:8], v[2:3]
	v_mov_b32_e32 v2, v7
	v_mov_b32_e32 v3, v8
	s_or_b32 s4, vcc_lo, s4
	s_andn2_b32 exec_lo, exec_lo, s4
	s_cbranch_execnz .LBB3_1279
.LBB3_1280:
	s_or_b32 exec_lo, exec_lo, s5
	v_readfirstlane_b32 s4, v37
	v_mov_b32_e32 v6, 0
	v_mov_b32_e32 v7, 0
	v_cmp_eq_u32_e64 s4, s4, v37
	s_and_saveexec_b32 s5, s4
	s_cbranch_execz .LBB3_1286
; %bb.1281:
	v_mov_b32_e32 v0, 0
	s_mov_b32 s8, exec_lo
	global_load_dwordx2 v[3:4], v0, s[26:27] offset:24 glc dlc
	s_waitcnt vmcnt(0)
	buffer_gl1_inv
	buffer_gl0_inv
	s_clause 0x1
	global_load_dwordx2 v[1:2], v0, s[26:27] offset:40
	global_load_dwordx2 v[5:6], v0, s[26:27]
	s_waitcnt vmcnt(1)
	v_and_b32_e32 v2, v2, v4
	v_and_b32_e32 v1, v1, v3
	v_mul_lo_u32 v2, v2, 24
	v_mul_hi_u32 v7, v1, 24
	v_mul_lo_u32 v1, v1, 24
	v_add_nc_u32_e32 v2, v7, v2
	s_waitcnt vmcnt(0)
	v_add_co_u32 v1, vcc_lo, v5, v1
	v_add_co_ci_u32_e32 v2, vcc_lo, v6, v2, vcc_lo
	global_load_dwordx2 v[1:2], v[1:2], off glc dlc
	s_waitcnt vmcnt(0)
	global_atomic_cmpswap_x2 v[6:7], v0, v[1:4], s[26:27] offset:24 glc
	s_waitcnt vmcnt(0)
	buffer_gl1_inv
	buffer_gl0_inv
	v_cmpx_ne_u64_e64 v[6:7], v[3:4]
	s_cbranch_execz .LBB3_1285
; %bb.1282:
	s_mov_b32 s9, 0
	.p2align	6
.LBB3_1283:                             ; =>This Inner Loop Header: Depth=1
	s_sleep 1
	s_clause 0x1
	global_load_dwordx2 v[1:2], v0, s[26:27] offset:40
	global_load_dwordx2 v[8:9], v0, s[26:27]
	v_mov_b32_e32 v3, v6
	v_mov_b32_e32 v4, v7
	s_waitcnt vmcnt(1)
	v_and_b32_e32 v1, v1, v3
	v_and_b32_e32 v2, v2, v4
	s_waitcnt vmcnt(0)
	v_mad_u64_u32 v[5:6], null, v1, 24, v[8:9]
	v_mov_b32_e32 v1, v6
	v_mad_u64_u32 v[1:2], null, v2, 24, v[1:2]
	v_mov_b32_e32 v6, v1
	global_load_dwordx2 v[1:2], v[5:6], off glc dlc
	s_waitcnt vmcnt(0)
	global_atomic_cmpswap_x2 v[6:7], v0, v[1:4], s[26:27] offset:24 glc
	s_waitcnt vmcnt(0)
	buffer_gl1_inv
	buffer_gl0_inv
	v_cmp_eq_u64_e32 vcc_lo, v[6:7], v[3:4]
	s_or_b32 s9, vcc_lo, s9
	s_andn2_b32 exec_lo, exec_lo, s9
	s_cbranch_execnz .LBB3_1283
; %bb.1284:
	s_or_b32 exec_lo, exec_lo, s9
.LBB3_1285:
	s_or_b32 exec_lo, exec_lo, s8
.LBB3_1286:
	s_or_b32 exec_lo, exec_lo, s5
	v_mov_b32_e32 v5, 0
	v_readfirstlane_b32 s8, v6
	v_readfirstlane_b32 s9, v7
	s_mov_b32 s5, exec_lo
	s_clause 0x1
	global_load_dwordx2 v[8:9], v5, s[26:27] offset:40
	global_load_dwordx4 v[0:3], v5, s[26:27]
	s_waitcnt vmcnt(1)
	v_readfirstlane_b32 s14, v8
	v_readfirstlane_b32 s15, v9
	s_and_b64 s[14:15], s[8:9], s[14:15]
	s_mul_i32 s16, s15, 24
	s_mul_hi_u32 s17, s14, 24
	s_mul_i32 s18, s14, 24
	s_add_i32 s17, s17, s16
	s_waitcnt vmcnt(0)
	v_add_co_u32 v8, vcc_lo, v0, s18
	v_add_co_ci_u32_e32 v9, vcc_lo, s17, v1, vcc_lo
	s_and_saveexec_b32 s16, s4
	s_cbranch_execz .LBB3_1288
; %bb.1287:
	v_mov_b32_e32 v4, s5
	v_mov_b32_e32 v6, 2
	v_mov_b32_e32 v7, 1
	global_store_dwordx4 v[8:9], v[4:7], off offset:8
.LBB3_1288:
	s_or_b32 exec_lo, exec_lo, s16
	s_lshl_b64 s[14:15], s[14:15], 12
	s_mov_b32 s16, 0
	v_add_co_u32 v2, vcc_lo, v2, s14
	v_add_co_ci_u32_e32 v3, vcc_lo, s15, v3, vcc_lo
	s_mov_b32 s17, s16
	v_add_co_u32 v10, vcc_lo, v2, v36
	s_mov_b32 s18, s16
	s_mov_b32 s19, s16
	v_mov_b32_e32 v4, 33
	v_mov_b32_e32 v6, v5
	;; [unrolled: 1-line block ×3, first 2 shown]
	v_readfirstlane_b32 s14, v2
	v_readfirstlane_b32 s15, v3
	v_mov_b32_e32 v12, s16
	v_add_co_ci_u32_e32 v11, vcc_lo, 0, v3, vcc_lo
	v_mov_b32_e32 v13, s17
	v_mov_b32_e32 v14, s18
	;; [unrolled: 1-line block ×3, first 2 shown]
	global_store_dwordx4 v36, v[4:7], s[14:15]
	global_store_dwordx4 v36, v[12:15], s[14:15] offset:16
	global_store_dwordx4 v36, v[12:15], s[14:15] offset:32
	;; [unrolled: 1-line block ×3, first 2 shown]
	s_and_saveexec_b32 s5, s4
	s_cbranch_execz .LBB3_1296
; %bb.1289:
	v_mov_b32_e32 v6, 0
	v_mov_b32_e32 v12, s8
	;; [unrolled: 1-line block ×3, first 2 shown]
	s_clause 0x1
	global_load_dwordx2 v[14:15], v6, s[26:27] offset:32 glc dlc
	global_load_dwordx2 v[2:3], v6, s[26:27] offset:40
	s_waitcnt vmcnt(0)
	v_readfirstlane_b32 s14, v2
	v_readfirstlane_b32 s15, v3
	s_and_b64 s[14:15], s[14:15], s[8:9]
	s_mul_i32 s15, s15, 24
	s_mul_hi_u32 s16, s14, 24
	s_mul_i32 s14, s14, 24
	s_add_i32 s16, s16, s15
	v_add_co_u32 v4, vcc_lo, v0, s14
	v_add_co_ci_u32_e32 v5, vcc_lo, s16, v1, vcc_lo
	s_mov_b32 s14, exec_lo
	global_store_dwordx2 v[4:5], v[14:15], off
	s_waitcnt_vscnt null, 0x0
	global_atomic_cmpswap_x2 v[2:3], v6, v[12:15], s[26:27] offset:32 glc
	s_waitcnt vmcnt(0)
	v_cmpx_ne_u64_e64 v[2:3], v[14:15]
	s_cbranch_execz .LBB3_1292
; %bb.1290:
	s_mov_b32 s15, 0
.LBB3_1291:                             ; =>This Inner Loop Header: Depth=1
	v_mov_b32_e32 v0, s8
	v_mov_b32_e32 v1, s9
	s_sleep 1
	global_store_dwordx2 v[4:5], v[2:3], off
	s_waitcnt_vscnt null, 0x0
	global_atomic_cmpswap_x2 v[0:1], v6, v[0:3], s[26:27] offset:32 glc
	s_waitcnt vmcnt(0)
	v_cmp_eq_u64_e32 vcc_lo, v[0:1], v[2:3]
	v_mov_b32_e32 v3, v1
	v_mov_b32_e32 v2, v0
	s_or_b32 s15, vcc_lo, s15
	s_andn2_b32 exec_lo, exec_lo, s15
	s_cbranch_execnz .LBB3_1291
.LBB3_1292:
	s_or_b32 exec_lo, exec_lo, s14
	v_mov_b32_e32 v3, 0
	s_mov_b32 s15, exec_lo
	s_mov_b32 s14, exec_lo
	v_mbcnt_lo_u32_b32 v2, s15, 0
	global_load_dwordx2 v[0:1], v3, s[26:27] offset:16
	v_cmpx_eq_u32_e32 0, v2
	s_cbranch_execz .LBB3_1294
; %bb.1293:
	s_bcnt1_i32_b32 s15, s15
	v_mov_b32_e32 v2, s15
	s_waitcnt vmcnt(0)
	global_atomic_add_x2 v[0:1], v[2:3], off offset:8
.LBB3_1294:
	s_or_b32 exec_lo, exec_lo, s14
	s_waitcnt vmcnt(0)
	global_load_dwordx2 v[2:3], v[0:1], off offset:16
	s_waitcnt vmcnt(0)
	v_cmp_eq_u64_e32 vcc_lo, 0, v[2:3]
	s_cbranch_vccnz .LBB3_1296
; %bb.1295:
	global_load_dword v0, v[0:1], off offset:24
	v_mov_b32_e32 v1, 0
	s_waitcnt vmcnt(0)
	v_and_b32_e32 v4, 0x7fffff, v0
	s_waitcnt_vscnt null, 0x0
	global_store_dwordx2 v[2:3], v[0:1], off
	v_readfirstlane_b32 m0, v4
	s_sendmsg sendmsg(MSG_INTERRUPT)
.LBB3_1296:
	s_or_b32 exec_lo, exec_lo, s5
	s_branch .LBB3_1300
	.p2align	6
.LBB3_1297:                             ;   in Loop: Header=BB3_1300 Depth=1
	s_or_b32 exec_lo, exec_lo, s5
	v_readfirstlane_b32 s5, v0
	s_cmp_eq_u32 s5, 0
	s_cbranch_scc1 .LBB3_1299
; %bb.1298:                             ;   in Loop: Header=BB3_1300 Depth=1
	s_sleep 1
	s_cbranch_execnz .LBB3_1300
	s_branch .LBB3_1302
	.p2align	6
.LBB3_1299:
	s_branch .LBB3_1302
.LBB3_1300:                             ; =>This Inner Loop Header: Depth=1
	v_mov_b32_e32 v0, 1
	s_and_saveexec_b32 s5, s4
	s_cbranch_execz .LBB3_1297
; %bb.1301:                             ;   in Loop: Header=BB3_1300 Depth=1
	global_load_dword v0, v[8:9], off offset:20 glc dlc
	s_waitcnt vmcnt(0)
	buffer_gl1_inv
	buffer_gl0_inv
	v_and_b32_e32 v0, 1, v0
	s_branch .LBB3_1297
.LBB3_1302:
	global_load_dwordx2 v[4:5], v[10:11], off
	s_and_saveexec_b32 s5, s4
	s_cbranch_execz .LBB3_1306
; %bb.1303:
	v_mov_b32_e32 v8, 0
	s_clause 0x2
	global_load_dwordx2 v[2:3], v8, s[26:27] offset:40
	global_load_dwordx2 v[9:10], v8, s[26:27] offset:24 glc dlc
	global_load_dwordx2 v[6:7], v8, s[26:27]
	s_waitcnt vmcnt(2)
	v_add_co_u32 v11, vcc_lo, v2, 1
	v_add_co_ci_u32_e32 v12, vcc_lo, 0, v3, vcc_lo
	v_add_co_u32 v0, vcc_lo, v11, s8
	v_add_co_ci_u32_e32 v1, vcc_lo, s9, v12, vcc_lo
	v_cmp_eq_u64_e32 vcc_lo, 0, v[0:1]
	v_cndmask_b32_e32 v1, v1, v12, vcc_lo
	v_cndmask_b32_e32 v0, v0, v11, vcc_lo
	v_and_b32_e32 v3, v1, v3
	v_and_b32_e32 v2, v0, v2
	v_mul_lo_u32 v3, v3, 24
	v_mul_hi_u32 v11, v2, 24
	v_mul_lo_u32 v2, v2, 24
	v_add_nc_u32_e32 v3, v11, v3
	s_waitcnt vmcnt(0)
	v_add_co_u32 v6, vcc_lo, v6, v2
	v_mov_b32_e32 v2, v9
	v_add_co_ci_u32_e32 v7, vcc_lo, v7, v3, vcc_lo
	v_mov_b32_e32 v3, v10
	global_store_dwordx2 v[6:7], v[9:10], off
	s_waitcnt_vscnt null, 0x0
	global_atomic_cmpswap_x2 v[2:3], v8, v[0:3], s[26:27] offset:24 glc
	s_waitcnt vmcnt(0)
	v_cmp_ne_u64_e32 vcc_lo, v[2:3], v[9:10]
	s_and_b32 exec_lo, exec_lo, vcc_lo
	s_cbranch_execz .LBB3_1306
; %bb.1304:
	s_mov_b32 s4, 0
.LBB3_1305:                             ; =>This Inner Loop Header: Depth=1
	s_sleep 1
	global_store_dwordx2 v[6:7], v[2:3], off
	s_waitcnt_vscnt null, 0x0
	global_atomic_cmpswap_x2 v[9:10], v8, v[0:3], s[26:27] offset:24 glc
	s_waitcnt vmcnt(0)
	v_cmp_eq_u64_e32 vcc_lo, v[9:10], v[2:3]
	v_mov_b32_e32 v2, v9
	v_mov_b32_e32 v3, v10
	s_or_b32 s4, vcc_lo, s4
	s_andn2_b32 exec_lo, exec_lo, s4
	s_cbranch_execnz .LBB3_1305
.LBB3_1306:
	s_or_b32 exec_lo, exec_lo, s5
	s_and_b32 vcc_lo, exec_lo, s13
	s_cbranch_vccz .LBB3_1385
; %bb.1307:
	s_waitcnt vmcnt(0)
	v_and_b32_e32 v28, 2, v4
	v_mov_b32_e32 v7, 0
	v_and_b32_e32 v0, -3, v4
	v_mov_b32_e32 v1, v5
	v_mov_b32_e32 v8, 2
	;; [unrolled: 1-line block ×3, first 2 shown]
	s_mov_b64 s[14:15], 3
	s_getpc_b64 s[8:9]
	s_add_u32 s8, s8, .str.5@rel32@lo+4
	s_addc_u32 s9, s9, .str.5@rel32@hi+12
	s_branch .LBB3_1309
.LBB3_1308:                             ;   in Loop: Header=BB3_1309 Depth=1
	s_or_b32 exec_lo, exec_lo, s5
	s_sub_u32 s14, s14, s16
	s_subb_u32 s15, s15, s17
	s_add_u32 s8, s8, s16
	s_addc_u32 s9, s9, s17
	s_cmp_lg_u64 s[14:15], 0
	s_cbranch_scc0 .LBB3_1384
.LBB3_1309:                             ; =>This Loop Header: Depth=1
                                        ;     Child Loop BB3_1318 Depth 2
                                        ;     Child Loop BB3_1314 Depth 2
	;; [unrolled: 1-line block ×11, first 2 shown]
	v_cmp_lt_u64_e64 s4, s[14:15], 56
	v_cmp_gt_u64_e64 s5, s[14:15], 7
                                        ; implicit-def: $vgpr2_vgpr3
                                        ; implicit-def: $sgpr13
	s_and_b32 s4, s4, exec_lo
	s_cselect_b32 s17, s15, 0
	s_cselect_b32 s16, s14, 56
	s_and_b32 vcc_lo, exec_lo, s5
	s_mov_b32 s4, -1
	s_cbranch_vccz .LBB3_1316
; %bb.1310:                             ;   in Loop: Header=BB3_1309 Depth=1
	s_andn2_b32 vcc_lo, exec_lo, s4
	s_mov_b64 s[4:5], s[8:9]
	s_cbranch_vccz .LBB3_1320
.LBB3_1311:                             ;   in Loop: Header=BB3_1309 Depth=1
	s_cmp_gt_u32 s13, 7
	s_cbranch_scc1 .LBB3_1321
.LBB3_1312:                             ;   in Loop: Header=BB3_1309 Depth=1
	v_mov_b32_e32 v10, 0
	v_mov_b32_e32 v11, 0
	s_cmp_eq_u32 s13, 0
	s_cbranch_scc1 .LBB3_1315
; %bb.1313:                             ;   in Loop: Header=BB3_1309 Depth=1
	s_mov_b64 s[18:19], 0
	s_mov_b64 s[20:21], 0
.LBB3_1314:                             ;   Parent Loop BB3_1309 Depth=1
                                        ; =>  This Inner Loop Header: Depth=2
	s_add_u32 s24, s4, s20
	s_addc_u32 s25, s5, s21
	s_add_u32 s20, s20, 1
	global_load_ubyte v6, v7, s[24:25]
	s_addc_u32 s21, s21, 0
	s_waitcnt vmcnt(0)
	v_and_b32_e32 v6, 0xffff, v6
	v_lshlrev_b64 v[12:13], s18, v[6:7]
	s_add_u32 s18, s18, 8
	s_addc_u32 s19, s19, 0
	s_cmp_lg_u32 s13, s20
	v_or_b32_e32 v10, v12, v10
	v_or_b32_e32 v11, v13, v11
	s_cbranch_scc1 .LBB3_1314
.LBB3_1315:                             ;   in Loop: Header=BB3_1309 Depth=1
	s_mov_b32 s23, 0
	s_cbranch_execz .LBB3_1322
	s_branch .LBB3_1323
.LBB3_1316:                             ;   in Loop: Header=BB3_1309 Depth=1
	s_waitcnt vmcnt(0)
	v_mov_b32_e32 v2, 0
	v_mov_b32_e32 v3, 0
	s_cmp_eq_u64 s[14:15], 0
	s_mov_b64 s[4:5], 0
	s_cbranch_scc1 .LBB3_1319
; %bb.1317:                             ;   in Loop: Header=BB3_1309 Depth=1
	v_mov_b32_e32 v2, 0
	v_mov_b32_e32 v3, 0
	s_lshl_b64 s[18:19], s[16:17], 3
	s_mov_b64 s[20:21], s[8:9]
.LBB3_1318:                             ;   Parent Loop BB3_1309 Depth=1
                                        ; =>  This Inner Loop Header: Depth=2
	global_load_ubyte v6, v7, s[20:21]
	s_waitcnt vmcnt(0)
	v_and_b32_e32 v6, 0xffff, v6
	v_lshlrev_b64 v[10:11], s4, v[6:7]
	s_add_u32 s4, s4, 8
	s_addc_u32 s5, s5, 0
	s_add_u32 s20, s20, 1
	s_addc_u32 s21, s21, 0
	s_cmp_lg_u32 s18, s4
	v_or_b32_e32 v2, v10, v2
	v_or_b32_e32 v3, v11, v3
	s_cbranch_scc1 .LBB3_1318
.LBB3_1319:                             ;   in Loop: Header=BB3_1309 Depth=1
	s_mov_b32 s13, 0
	s_mov_b64 s[4:5], s[8:9]
	s_cbranch_execnz .LBB3_1311
.LBB3_1320:                             ;   in Loop: Header=BB3_1309 Depth=1
	global_load_dwordx2 v[2:3], v7, s[8:9]
	s_add_i32 s13, s16, -8
	s_add_u32 s4, s8, 8
	s_addc_u32 s5, s9, 0
	s_cmp_gt_u32 s13, 7
	s_cbranch_scc0 .LBB3_1312
.LBB3_1321:                             ;   in Loop: Header=BB3_1309 Depth=1
                                        ; implicit-def: $vgpr10_vgpr11
                                        ; implicit-def: $sgpr23
.LBB3_1322:                             ;   in Loop: Header=BB3_1309 Depth=1
	global_load_dwordx2 v[10:11], v7, s[4:5]
	s_add_i32 s23, s13, -8
	s_add_u32 s4, s4, 8
	s_addc_u32 s5, s5, 0
.LBB3_1323:                             ;   in Loop: Header=BB3_1309 Depth=1
	s_cmp_gt_u32 s23, 7
	s_cbranch_scc1 .LBB3_1328
; %bb.1324:                             ;   in Loop: Header=BB3_1309 Depth=1
	v_mov_b32_e32 v12, 0
	v_mov_b32_e32 v13, 0
	s_cmp_eq_u32 s23, 0
	s_cbranch_scc1 .LBB3_1327
; %bb.1325:                             ;   in Loop: Header=BB3_1309 Depth=1
	s_mov_b64 s[18:19], 0
	s_mov_b64 s[20:21], 0
.LBB3_1326:                             ;   Parent Loop BB3_1309 Depth=1
                                        ; =>  This Inner Loop Header: Depth=2
	s_add_u32 s24, s4, s20
	s_addc_u32 s25, s5, s21
	s_add_u32 s20, s20, 1
	global_load_ubyte v6, v7, s[24:25]
	s_addc_u32 s21, s21, 0
	s_waitcnt vmcnt(0)
	v_and_b32_e32 v6, 0xffff, v6
	v_lshlrev_b64 v[14:15], s18, v[6:7]
	s_add_u32 s18, s18, 8
	s_addc_u32 s19, s19, 0
	s_cmp_lg_u32 s23, s20
	v_or_b32_e32 v12, v14, v12
	v_or_b32_e32 v13, v15, v13
	s_cbranch_scc1 .LBB3_1326
.LBB3_1327:                             ;   in Loop: Header=BB3_1309 Depth=1
	s_mov_b32 s13, 0
	s_cbranch_execz .LBB3_1329
	s_branch .LBB3_1330
.LBB3_1328:                             ;   in Loop: Header=BB3_1309 Depth=1
                                        ; implicit-def: $sgpr13
.LBB3_1329:                             ;   in Loop: Header=BB3_1309 Depth=1
	global_load_dwordx2 v[12:13], v7, s[4:5]
	s_add_i32 s13, s23, -8
	s_add_u32 s4, s4, 8
	s_addc_u32 s5, s5, 0
.LBB3_1330:                             ;   in Loop: Header=BB3_1309 Depth=1
	s_cmp_gt_u32 s13, 7
	s_cbranch_scc1 .LBB3_1335
; %bb.1331:                             ;   in Loop: Header=BB3_1309 Depth=1
	v_mov_b32_e32 v14, 0
	v_mov_b32_e32 v15, 0
	s_cmp_eq_u32 s13, 0
	s_cbranch_scc1 .LBB3_1334
; %bb.1332:                             ;   in Loop: Header=BB3_1309 Depth=1
	s_mov_b64 s[18:19], 0
	s_mov_b64 s[20:21], 0
.LBB3_1333:                             ;   Parent Loop BB3_1309 Depth=1
                                        ; =>  This Inner Loop Header: Depth=2
	s_add_u32 s24, s4, s20
	s_addc_u32 s25, s5, s21
	s_add_u32 s20, s20, 1
	global_load_ubyte v6, v7, s[24:25]
	s_addc_u32 s21, s21, 0
	s_waitcnt vmcnt(0)
	v_and_b32_e32 v6, 0xffff, v6
	v_lshlrev_b64 v[16:17], s18, v[6:7]
	s_add_u32 s18, s18, 8
	s_addc_u32 s19, s19, 0
	s_cmp_lg_u32 s13, s20
	v_or_b32_e32 v14, v16, v14
	v_or_b32_e32 v15, v17, v15
	s_cbranch_scc1 .LBB3_1333
.LBB3_1334:                             ;   in Loop: Header=BB3_1309 Depth=1
	s_mov_b32 s23, 0
	s_cbranch_execz .LBB3_1336
	s_branch .LBB3_1337
.LBB3_1335:                             ;   in Loop: Header=BB3_1309 Depth=1
                                        ; implicit-def: $vgpr14_vgpr15
                                        ; implicit-def: $sgpr23
.LBB3_1336:                             ;   in Loop: Header=BB3_1309 Depth=1
	global_load_dwordx2 v[14:15], v7, s[4:5]
	s_add_i32 s23, s13, -8
	s_add_u32 s4, s4, 8
	s_addc_u32 s5, s5, 0
.LBB3_1337:                             ;   in Loop: Header=BB3_1309 Depth=1
	s_cmp_gt_u32 s23, 7
	s_cbranch_scc1 .LBB3_1342
; %bb.1338:                             ;   in Loop: Header=BB3_1309 Depth=1
	v_mov_b32_e32 v16, 0
	v_mov_b32_e32 v17, 0
	s_cmp_eq_u32 s23, 0
	s_cbranch_scc1 .LBB3_1341
; %bb.1339:                             ;   in Loop: Header=BB3_1309 Depth=1
	s_mov_b64 s[18:19], 0
	s_mov_b64 s[20:21], 0
.LBB3_1340:                             ;   Parent Loop BB3_1309 Depth=1
                                        ; =>  This Inner Loop Header: Depth=2
	s_add_u32 s24, s4, s20
	s_addc_u32 s25, s5, s21
	s_add_u32 s20, s20, 1
	global_load_ubyte v6, v7, s[24:25]
	s_addc_u32 s21, s21, 0
	s_waitcnt vmcnt(0)
	v_and_b32_e32 v6, 0xffff, v6
	v_lshlrev_b64 v[18:19], s18, v[6:7]
	s_add_u32 s18, s18, 8
	s_addc_u32 s19, s19, 0
	s_cmp_lg_u32 s23, s20
	v_or_b32_e32 v16, v18, v16
	v_or_b32_e32 v17, v19, v17
	s_cbranch_scc1 .LBB3_1340
.LBB3_1341:                             ;   in Loop: Header=BB3_1309 Depth=1
	s_mov_b32 s13, 0
	s_cbranch_execz .LBB3_1343
	s_branch .LBB3_1344
.LBB3_1342:                             ;   in Loop: Header=BB3_1309 Depth=1
                                        ; implicit-def: $sgpr13
.LBB3_1343:                             ;   in Loop: Header=BB3_1309 Depth=1
	global_load_dwordx2 v[16:17], v7, s[4:5]
	s_add_i32 s13, s23, -8
	s_add_u32 s4, s4, 8
	s_addc_u32 s5, s5, 0
.LBB3_1344:                             ;   in Loop: Header=BB3_1309 Depth=1
	s_cmp_gt_u32 s13, 7
	s_cbranch_scc1 .LBB3_1349
; %bb.1345:                             ;   in Loop: Header=BB3_1309 Depth=1
	v_mov_b32_e32 v18, 0
	v_mov_b32_e32 v19, 0
	s_cmp_eq_u32 s13, 0
	s_cbranch_scc1 .LBB3_1348
; %bb.1346:                             ;   in Loop: Header=BB3_1309 Depth=1
	s_mov_b64 s[18:19], 0
	s_mov_b64 s[20:21], 0
.LBB3_1347:                             ;   Parent Loop BB3_1309 Depth=1
                                        ; =>  This Inner Loop Header: Depth=2
	s_add_u32 s24, s4, s20
	s_addc_u32 s25, s5, s21
	s_add_u32 s20, s20, 1
	global_load_ubyte v6, v7, s[24:25]
	s_addc_u32 s21, s21, 0
	s_waitcnt vmcnt(0)
	v_and_b32_e32 v6, 0xffff, v6
	v_lshlrev_b64 v[20:21], s18, v[6:7]
	s_add_u32 s18, s18, 8
	s_addc_u32 s19, s19, 0
	s_cmp_lg_u32 s13, s20
	v_or_b32_e32 v18, v20, v18
	v_or_b32_e32 v19, v21, v19
	s_cbranch_scc1 .LBB3_1347
.LBB3_1348:                             ;   in Loop: Header=BB3_1309 Depth=1
	s_mov_b32 s23, 0
	s_cbranch_execz .LBB3_1350
	s_branch .LBB3_1351
.LBB3_1349:                             ;   in Loop: Header=BB3_1309 Depth=1
                                        ; implicit-def: $vgpr18_vgpr19
                                        ; implicit-def: $sgpr23
.LBB3_1350:                             ;   in Loop: Header=BB3_1309 Depth=1
	global_load_dwordx2 v[18:19], v7, s[4:5]
	s_add_i32 s23, s13, -8
	s_add_u32 s4, s4, 8
	s_addc_u32 s5, s5, 0
.LBB3_1351:                             ;   in Loop: Header=BB3_1309 Depth=1
	s_cmp_gt_u32 s23, 7
	s_cbranch_scc1 .LBB3_1356
; %bb.1352:                             ;   in Loop: Header=BB3_1309 Depth=1
	v_mov_b32_e32 v20, 0
	v_mov_b32_e32 v21, 0
	s_cmp_eq_u32 s23, 0
	s_cbranch_scc1 .LBB3_1355
; %bb.1353:                             ;   in Loop: Header=BB3_1309 Depth=1
	s_mov_b64 s[18:19], 0
	s_mov_b64 s[20:21], s[4:5]
.LBB3_1354:                             ;   Parent Loop BB3_1309 Depth=1
                                        ; =>  This Inner Loop Header: Depth=2
	global_load_ubyte v6, v7, s[20:21]
	s_add_i32 s23, s23, -1
	s_waitcnt vmcnt(0)
	v_and_b32_e32 v6, 0xffff, v6
	v_lshlrev_b64 v[22:23], s18, v[6:7]
	s_add_u32 s18, s18, 8
	s_addc_u32 s19, s19, 0
	s_add_u32 s20, s20, 1
	s_addc_u32 s21, s21, 0
	s_cmp_lg_u32 s23, 0
	v_or_b32_e32 v20, v22, v20
	v_or_b32_e32 v21, v23, v21
	s_cbranch_scc1 .LBB3_1354
.LBB3_1355:                             ;   in Loop: Header=BB3_1309 Depth=1
	s_cbranch_execz .LBB3_1357
	s_branch .LBB3_1358
.LBB3_1356:                             ;   in Loop: Header=BB3_1309 Depth=1
.LBB3_1357:                             ;   in Loop: Header=BB3_1309 Depth=1
	global_load_dwordx2 v[20:21], v7, s[4:5]
.LBB3_1358:                             ;   in Loop: Header=BB3_1309 Depth=1
	v_readfirstlane_b32 s4, v37
	v_mov_b32_e32 v26, 0
	v_mov_b32_e32 v27, 0
	v_cmp_eq_u32_e64 s4, s4, v37
	s_and_saveexec_b32 s5, s4
	s_cbranch_execz .LBB3_1364
; %bb.1359:                             ;   in Loop: Header=BB3_1309 Depth=1
	global_load_dwordx2 v[24:25], v7, s[26:27] offset:24 glc dlc
	s_waitcnt vmcnt(0)
	buffer_gl1_inv
	buffer_gl0_inv
	s_clause 0x1
	global_load_dwordx2 v[22:23], v7, s[26:27] offset:40
	global_load_dwordx2 v[26:27], v7, s[26:27]
	s_mov_b32 s13, exec_lo
	s_waitcnt vmcnt(1)
	v_and_b32_e32 v6, v23, v25
	v_and_b32_e32 v22, v22, v24
	v_mul_lo_u32 v6, v6, 24
	v_mul_hi_u32 v23, v22, 24
	v_mul_lo_u32 v22, v22, 24
	v_add_nc_u32_e32 v6, v23, v6
	s_waitcnt vmcnt(0)
	v_add_co_u32 v22, vcc_lo, v26, v22
	v_add_co_ci_u32_e32 v23, vcc_lo, v27, v6, vcc_lo
	global_load_dwordx2 v[22:23], v[22:23], off glc dlc
	s_waitcnt vmcnt(0)
	global_atomic_cmpswap_x2 v[26:27], v7, v[22:25], s[26:27] offset:24 glc
	s_waitcnt vmcnt(0)
	buffer_gl1_inv
	buffer_gl0_inv
	v_cmpx_ne_u64_e64 v[26:27], v[24:25]
	s_cbranch_execz .LBB3_1363
; %bb.1360:                             ;   in Loop: Header=BB3_1309 Depth=1
	s_mov_b32 s18, 0
	.p2align	6
.LBB3_1361:                             ;   Parent Loop BB3_1309 Depth=1
                                        ; =>  This Inner Loop Header: Depth=2
	s_sleep 1
	s_clause 0x1
	global_load_dwordx2 v[22:23], v7, s[26:27] offset:40
	global_load_dwordx2 v[29:30], v7, s[26:27]
	v_mov_b32_e32 v24, v26
	v_mov_b32_e32 v25, v27
	s_waitcnt vmcnt(1)
	v_and_b32_e32 v6, v22, v24
	v_and_b32_e32 v22, v23, v25
	s_waitcnt vmcnt(0)
	v_mad_u64_u32 v[26:27], null, v6, 24, v[29:30]
	v_mov_b32_e32 v6, v27
	v_mad_u64_u32 v[22:23], null, v22, 24, v[6:7]
	v_mov_b32_e32 v27, v22
	global_load_dwordx2 v[22:23], v[26:27], off glc dlc
	s_waitcnt vmcnt(0)
	global_atomic_cmpswap_x2 v[26:27], v7, v[22:25], s[26:27] offset:24 glc
	s_waitcnt vmcnt(0)
	buffer_gl1_inv
	buffer_gl0_inv
	v_cmp_eq_u64_e32 vcc_lo, v[26:27], v[24:25]
	s_or_b32 s18, vcc_lo, s18
	s_andn2_b32 exec_lo, exec_lo, s18
	s_cbranch_execnz .LBB3_1361
; %bb.1362:                             ;   in Loop: Header=BB3_1309 Depth=1
	s_or_b32 exec_lo, exec_lo, s18
.LBB3_1363:                             ;   in Loop: Header=BB3_1309 Depth=1
	s_or_b32 exec_lo, exec_lo, s13
.LBB3_1364:                             ;   in Loop: Header=BB3_1309 Depth=1
	s_or_b32 exec_lo, exec_lo, s5
	s_clause 0x1
	global_load_dwordx2 v[29:30], v7, s[26:27] offset:40
	global_load_dwordx4 v[22:25], v7, s[26:27]
	v_readfirstlane_b32 s18, v26
	v_readfirstlane_b32 s19, v27
	s_mov_b32 s5, exec_lo
	s_waitcnt vmcnt(1)
	v_readfirstlane_b32 s20, v29
	v_readfirstlane_b32 s21, v30
	s_and_b64 s[20:21], s[18:19], s[20:21]
	s_mul_i32 s13, s21, 24
	s_mul_hi_u32 s23, s20, 24
	s_mul_i32 s24, s20, 24
	s_add_i32 s23, s23, s13
	s_waitcnt vmcnt(0)
	v_add_co_u32 v26, vcc_lo, v22, s24
	v_add_co_ci_u32_e32 v27, vcc_lo, s23, v23, vcc_lo
	s_and_saveexec_b32 s13, s4
	s_cbranch_execz .LBB3_1366
; %bb.1365:                             ;   in Loop: Header=BB3_1309 Depth=1
	v_mov_b32_e32 v6, s5
	global_store_dwordx4 v[26:27], v[6:9], off offset:8
.LBB3_1366:                             ;   in Loop: Header=BB3_1309 Depth=1
	s_or_b32 exec_lo, exec_lo, s13
	s_lshl_b64 s[20:21], s[20:21], 12
	v_cmp_gt_u64_e64 vcc_lo, s[14:15], 56
	v_or_b32_e32 v29, v0, v28
	v_add_co_u32 v24, s5, v24, s20
	v_add_co_ci_u32_e64 v25, s5, s21, v25, s5
	s_lshl_b32 s5, s16, 2
	v_or_b32_e32 v6, 0, v1
	v_cndmask_b32_e32 v0, v29, v0, vcc_lo
	s_add_i32 s5, s5, 28
	v_readfirstlane_b32 s20, v24
	s_and_b32 s5, s5, 0x1e0
	v_cndmask_b32_e32 v1, v6, v1, vcc_lo
	v_readfirstlane_b32 s21, v25
	v_and_or_b32 v0, 0xffffff1f, v0, s5
	global_store_dwordx4 v36, v[0:3], s[20:21]
	global_store_dwordx4 v36, v[10:13], s[20:21] offset:16
	global_store_dwordx4 v36, v[14:17], s[20:21] offset:32
	;; [unrolled: 1-line block ×3, first 2 shown]
	s_and_saveexec_b32 s5, s4
	s_cbranch_execz .LBB3_1374
; %bb.1367:                             ;   in Loop: Header=BB3_1309 Depth=1
	s_clause 0x1
	global_load_dwordx2 v[14:15], v7, s[26:27] offset:32 glc dlc
	global_load_dwordx2 v[0:1], v7, s[26:27] offset:40
	v_mov_b32_e32 v12, s18
	v_mov_b32_e32 v13, s19
	s_waitcnt vmcnt(0)
	v_readfirstlane_b32 s20, v0
	v_readfirstlane_b32 s21, v1
	s_and_b64 s[20:21], s[20:21], s[18:19]
	s_mul_i32 s13, s21, 24
	s_mul_hi_u32 s21, s20, 24
	s_mul_i32 s20, s20, 24
	s_add_i32 s21, s21, s13
	v_add_co_u32 v10, vcc_lo, v22, s20
	v_add_co_ci_u32_e32 v11, vcc_lo, s21, v23, vcc_lo
	s_mov_b32 s13, exec_lo
	global_store_dwordx2 v[10:11], v[14:15], off
	s_waitcnt_vscnt null, 0x0
	global_atomic_cmpswap_x2 v[2:3], v7, v[12:15], s[26:27] offset:32 glc
	s_waitcnt vmcnt(0)
	v_cmpx_ne_u64_e64 v[2:3], v[14:15]
	s_cbranch_execz .LBB3_1370
; %bb.1368:                             ;   in Loop: Header=BB3_1309 Depth=1
	s_mov_b32 s20, 0
.LBB3_1369:                             ;   Parent Loop BB3_1309 Depth=1
                                        ; =>  This Inner Loop Header: Depth=2
	v_mov_b32_e32 v0, s18
	v_mov_b32_e32 v1, s19
	s_sleep 1
	global_store_dwordx2 v[10:11], v[2:3], off
	s_waitcnt_vscnt null, 0x0
	global_atomic_cmpswap_x2 v[0:1], v7, v[0:3], s[26:27] offset:32 glc
	s_waitcnt vmcnt(0)
	v_cmp_eq_u64_e32 vcc_lo, v[0:1], v[2:3]
	v_mov_b32_e32 v3, v1
	v_mov_b32_e32 v2, v0
	s_or_b32 s20, vcc_lo, s20
	s_andn2_b32 exec_lo, exec_lo, s20
	s_cbranch_execnz .LBB3_1369
.LBB3_1370:                             ;   in Loop: Header=BB3_1309 Depth=1
	s_or_b32 exec_lo, exec_lo, s13
	global_load_dwordx2 v[0:1], v7, s[26:27] offset:16
	s_mov_b32 s20, exec_lo
	s_mov_b32 s13, exec_lo
	v_mbcnt_lo_u32_b32 v2, s20, 0
	v_cmpx_eq_u32_e32 0, v2
	s_cbranch_execz .LBB3_1372
; %bb.1371:                             ;   in Loop: Header=BB3_1309 Depth=1
	s_bcnt1_i32_b32 s20, s20
	v_mov_b32_e32 v6, s20
	s_waitcnt vmcnt(0)
	global_atomic_add_x2 v[0:1], v[6:7], off offset:8
.LBB3_1372:                             ;   in Loop: Header=BB3_1309 Depth=1
	s_or_b32 exec_lo, exec_lo, s13
	s_waitcnt vmcnt(0)
	global_load_dwordx2 v[2:3], v[0:1], off offset:16
	s_waitcnt vmcnt(0)
	v_cmp_eq_u64_e32 vcc_lo, 0, v[2:3]
	s_cbranch_vccnz .LBB3_1374
; %bb.1373:                             ;   in Loop: Header=BB3_1309 Depth=1
	global_load_dword v6, v[0:1], off offset:24
	s_waitcnt vmcnt(0)
	v_and_b32_e32 v0, 0x7fffff, v6
	s_waitcnt_vscnt null, 0x0
	global_store_dwordx2 v[2:3], v[6:7], off
	v_readfirstlane_b32 m0, v0
	s_sendmsg sendmsg(MSG_INTERRUPT)
.LBB3_1374:                             ;   in Loop: Header=BB3_1309 Depth=1
	s_or_b32 exec_lo, exec_lo, s5
	v_add_co_u32 v0, vcc_lo, v24, v36
	v_add_co_ci_u32_e32 v1, vcc_lo, 0, v25, vcc_lo
	s_branch .LBB3_1378
	.p2align	6
.LBB3_1375:                             ;   in Loop: Header=BB3_1378 Depth=2
	s_or_b32 exec_lo, exec_lo, s5
	v_readfirstlane_b32 s5, v2
	s_cmp_eq_u32 s5, 0
	s_cbranch_scc1 .LBB3_1377
; %bb.1376:                             ;   in Loop: Header=BB3_1378 Depth=2
	s_sleep 1
	s_cbranch_execnz .LBB3_1378
	s_branch .LBB3_1380
	.p2align	6
.LBB3_1377:                             ;   in Loop: Header=BB3_1309 Depth=1
	s_branch .LBB3_1380
.LBB3_1378:                             ;   Parent Loop BB3_1309 Depth=1
                                        ; =>  This Inner Loop Header: Depth=2
	v_mov_b32_e32 v2, 1
	s_and_saveexec_b32 s5, s4
	s_cbranch_execz .LBB3_1375
; %bb.1379:                             ;   in Loop: Header=BB3_1378 Depth=2
	global_load_dword v2, v[26:27], off offset:20 glc dlc
	s_waitcnt vmcnt(0)
	buffer_gl1_inv
	buffer_gl0_inv
	v_and_b32_e32 v2, 1, v2
	s_branch .LBB3_1375
.LBB3_1380:                             ;   in Loop: Header=BB3_1309 Depth=1
	global_load_dwordx4 v[0:3], v[0:1], off
	s_and_saveexec_b32 s5, s4
	s_cbranch_execz .LBB3_1308
; %bb.1381:                             ;   in Loop: Header=BB3_1309 Depth=1
	s_clause 0x2
	global_load_dwordx2 v[2:3], v7, s[26:27] offset:40
	global_load_dwordx2 v[14:15], v7, s[26:27] offset:24 glc dlc
	global_load_dwordx2 v[12:13], v7, s[26:27]
	s_waitcnt vmcnt(2)
	v_add_co_u32 v6, vcc_lo, v2, 1
	v_add_co_ci_u32_e32 v16, vcc_lo, 0, v3, vcc_lo
	v_add_co_u32 v10, vcc_lo, v6, s18
	v_add_co_ci_u32_e32 v11, vcc_lo, s19, v16, vcc_lo
	v_cmp_eq_u64_e32 vcc_lo, 0, v[10:11]
	v_cndmask_b32_e32 v11, v11, v16, vcc_lo
	v_cndmask_b32_e32 v10, v10, v6, vcc_lo
	v_and_b32_e32 v3, v11, v3
	v_and_b32_e32 v2, v10, v2
	v_mul_lo_u32 v3, v3, 24
	v_mul_hi_u32 v6, v2, 24
	v_mul_lo_u32 v2, v2, 24
	v_add_nc_u32_e32 v3, v6, v3
	s_waitcnt vmcnt(0)
	v_add_co_u32 v2, vcc_lo, v12, v2
	v_mov_b32_e32 v12, v14
	v_add_co_ci_u32_e32 v3, vcc_lo, v13, v3, vcc_lo
	v_mov_b32_e32 v13, v15
	global_store_dwordx2 v[2:3], v[14:15], off
	s_waitcnt_vscnt null, 0x0
	global_atomic_cmpswap_x2 v[12:13], v7, v[10:13], s[26:27] offset:24 glc
	s_waitcnt vmcnt(0)
	v_cmp_ne_u64_e32 vcc_lo, v[12:13], v[14:15]
	s_and_b32 exec_lo, exec_lo, vcc_lo
	s_cbranch_execz .LBB3_1308
; %bb.1382:                             ;   in Loop: Header=BB3_1309 Depth=1
	s_mov_b32 s4, 0
.LBB3_1383:                             ;   Parent Loop BB3_1309 Depth=1
                                        ; =>  This Inner Loop Header: Depth=2
	s_sleep 1
	global_store_dwordx2 v[2:3], v[12:13], off
	s_waitcnt_vscnt null, 0x0
	global_atomic_cmpswap_x2 v[14:15], v7, v[10:13], s[26:27] offset:24 glc
	s_waitcnt vmcnt(0)
	v_cmp_eq_u64_e32 vcc_lo, v[14:15], v[12:13]
	v_mov_b32_e32 v12, v14
	v_mov_b32_e32 v13, v15
	s_or_b32 s4, vcc_lo, s4
	s_andn2_b32 exec_lo, exec_lo, s4
	s_cbranch_execnz .LBB3_1383
	s_branch .LBB3_1308
.LBB3_1384:
	s_branch .LBB3_1413
.LBB3_1385:
                                        ; implicit-def: $vgpr0_vgpr1
	s_cbranch_execz .LBB3_1413
; %bb.1386:
	v_readfirstlane_b32 s4, v37
	v_mov_b32_e32 v7, 0
	v_mov_b32_e32 v8, 0
	v_cmp_eq_u32_e64 s4, s4, v37
	s_and_saveexec_b32 s5, s4
	s_cbranch_execz .LBB3_1392
; %bb.1387:
	s_waitcnt vmcnt(0)
	v_mov_b32_e32 v0, 0
	s_mov_b32 s8, exec_lo
	global_load_dwordx2 v[9:10], v0, s[26:27] offset:24 glc dlc
	s_waitcnt vmcnt(0)
	buffer_gl1_inv
	buffer_gl0_inv
	s_clause 0x1
	global_load_dwordx2 v[1:2], v0, s[26:27] offset:40
	global_load_dwordx2 v[6:7], v0, s[26:27]
	s_waitcnt vmcnt(1)
	v_and_b32_e32 v2, v2, v10
	v_and_b32_e32 v1, v1, v9
	v_mul_lo_u32 v2, v2, 24
	v_mul_hi_u32 v3, v1, 24
	v_mul_lo_u32 v1, v1, 24
	v_add_nc_u32_e32 v2, v3, v2
	s_waitcnt vmcnt(0)
	v_add_co_u32 v1, vcc_lo, v6, v1
	v_add_co_ci_u32_e32 v2, vcc_lo, v7, v2, vcc_lo
	global_load_dwordx2 v[7:8], v[1:2], off glc dlc
	s_waitcnt vmcnt(0)
	global_atomic_cmpswap_x2 v[7:8], v0, v[7:10], s[26:27] offset:24 glc
	s_waitcnt vmcnt(0)
	buffer_gl1_inv
	buffer_gl0_inv
	v_cmpx_ne_u64_e64 v[7:8], v[9:10]
	s_cbranch_execz .LBB3_1391
; %bb.1388:
	s_mov_b32 s9, 0
	.p2align	6
.LBB3_1389:                             ; =>This Inner Loop Header: Depth=1
	s_sleep 1
	s_clause 0x1
	global_load_dwordx2 v[1:2], v0, s[26:27] offset:40
	global_load_dwordx2 v[11:12], v0, s[26:27]
	v_mov_b32_e32 v10, v8
	v_mov_b32_e32 v9, v7
	s_waitcnt vmcnt(1)
	v_and_b32_e32 v1, v1, v9
	v_and_b32_e32 v2, v2, v10
	s_waitcnt vmcnt(0)
	v_mad_u64_u32 v[6:7], null, v1, 24, v[11:12]
	v_mov_b32_e32 v1, v7
	v_mad_u64_u32 v[1:2], null, v2, 24, v[1:2]
	v_mov_b32_e32 v7, v1
	global_load_dwordx2 v[7:8], v[6:7], off glc dlc
	s_waitcnt vmcnt(0)
	global_atomic_cmpswap_x2 v[7:8], v0, v[7:10], s[26:27] offset:24 glc
	s_waitcnt vmcnt(0)
	buffer_gl1_inv
	buffer_gl0_inv
	v_cmp_eq_u64_e32 vcc_lo, v[7:8], v[9:10]
	s_or_b32 s9, vcc_lo, s9
	s_andn2_b32 exec_lo, exec_lo, s9
	s_cbranch_execnz .LBB3_1389
; %bb.1390:
	s_or_b32 exec_lo, exec_lo, s9
.LBB3_1391:
	s_or_b32 exec_lo, exec_lo, s8
.LBB3_1392:
	s_or_b32 exec_lo, exec_lo, s5
	v_mov_b32_e32 v6, 0
	v_readfirstlane_b32 s8, v7
	v_readfirstlane_b32 s9, v8
	s_mov_b32 s5, exec_lo
	s_clause 0x1
	global_load_dwordx2 v[9:10], v6, s[26:27] offset:40
	global_load_dwordx4 v[0:3], v6, s[26:27]
	s_waitcnt vmcnt(1)
	v_readfirstlane_b32 s14, v9
	v_readfirstlane_b32 s15, v10
	s_and_b64 s[14:15], s[8:9], s[14:15]
	s_mul_i32 s13, s15, 24
	s_mul_hi_u32 s16, s14, 24
	s_mul_i32 s17, s14, 24
	s_add_i32 s16, s16, s13
	s_waitcnt vmcnt(0)
	v_add_co_u32 v8, vcc_lo, v0, s17
	v_add_co_ci_u32_e32 v9, vcc_lo, s16, v1, vcc_lo
	s_and_saveexec_b32 s13, s4
	s_cbranch_execz .LBB3_1394
; %bb.1393:
	v_mov_b32_e32 v10, s5
	v_mov_b32_e32 v11, v6
	;; [unrolled: 1-line block ×4, first 2 shown]
	global_store_dwordx4 v[8:9], v[10:13], off offset:8
.LBB3_1394:
	s_or_b32 exec_lo, exec_lo, s13
	s_lshl_b64 s[14:15], s[14:15], 12
	s_mov_b32 s16, 0
	v_add_co_u32 v2, vcc_lo, v2, s14
	v_add_co_ci_u32_e32 v3, vcc_lo, s15, v3, vcc_lo
	s_mov_b32 s17, s16
	v_add_co_u32 v10, vcc_lo, v2, v36
	s_mov_b32 s18, s16
	s_mov_b32 s19, s16
	v_and_or_b32 v4, 0xffffff1f, v4, 32
	v_mov_b32_e32 v7, v6
	v_readfirstlane_b32 s14, v2
	v_readfirstlane_b32 s15, v3
	v_mov_b32_e32 v12, s16
	v_add_co_ci_u32_e32 v11, vcc_lo, 0, v3, vcc_lo
	v_mov_b32_e32 v13, s17
	v_mov_b32_e32 v14, s18
	;; [unrolled: 1-line block ×3, first 2 shown]
	global_store_dwordx4 v36, v[4:7], s[14:15]
	global_store_dwordx4 v36, v[12:15], s[14:15] offset:16
	global_store_dwordx4 v36, v[12:15], s[14:15] offset:32
	;; [unrolled: 1-line block ×3, first 2 shown]
	s_and_saveexec_b32 s5, s4
	s_cbranch_execz .LBB3_1402
; %bb.1395:
	v_mov_b32_e32 v6, 0
	v_mov_b32_e32 v12, s8
	;; [unrolled: 1-line block ×3, first 2 shown]
	s_clause 0x1
	global_load_dwordx2 v[14:15], v6, s[26:27] offset:32 glc dlc
	global_load_dwordx2 v[2:3], v6, s[26:27] offset:40
	s_waitcnt vmcnt(0)
	v_readfirstlane_b32 s14, v2
	v_readfirstlane_b32 s15, v3
	s_and_b64 s[14:15], s[14:15], s[8:9]
	s_mul_i32 s13, s15, 24
	s_mul_hi_u32 s15, s14, 24
	s_mul_i32 s14, s14, 24
	s_add_i32 s15, s15, s13
	v_add_co_u32 v4, vcc_lo, v0, s14
	v_add_co_ci_u32_e32 v5, vcc_lo, s15, v1, vcc_lo
	s_mov_b32 s13, exec_lo
	global_store_dwordx2 v[4:5], v[14:15], off
	s_waitcnt_vscnt null, 0x0
	global_atomic_cmpswap_x2 v[2:3], v6, v[12:15], s[26:27] offset:32 glc
	s_waitcnt vmcnt(0)
	v_cmpx_ne_u64_e64 v[2:3], v[14:15]
	s_cbranch_execz .LBB3_1398
; %bb.1396:
	s_mov_b32 s14, 0
.LBB3_1397:                             ; =>This Inner Loop Header: Depth=1
	v_mov_b32_e32 v0, s8
	v_mov_b32_e32 v1, s9
	s_sleep 1
	global_store_dwordx2 v[4:5], v[2:3], off
	s_waitcnt_vscnt null, 0x0
	global_atomic_cmpswap_x2 v[0:1], v6, v[0:3], s[26:27] offset:32 glc
	s_waitcnt vmcnt(0)
	v_cmp_eq_u64_e32 vcc_lo, v[0:1], v[2:3]
	v_mov_b32_e32 v3, v1
	v_mov_b32_e32 v2, v0
	s_or_b32 s14, vcc_lo, s14
	s_andn2_b32 exec_lo, exec_lo, s14
	s_cbranch_execnz .LBB3_1397
.LBB3_1398:
	s_or_b32 exec_lo, exec_lo, s13
	v_mov_b32_e32 v3, 0
	s_mov_b32 s14, exec_lo
	s_mov_b32 s13, exec_lo
	v_mbcnt_lo_u32_b32 v2, s14, 0
	global_load_dwordx2 v[0:1], v3, s[26:27] offset:16
	v_cmpx_eq_u32_e32 0, v2
	s_cbranch_execz .LBB3_1400
; %bb.1399:
	s_bcnt1_i32_b32 s14, s14
	v_mov_b32_e32 v2, s14
	s_waitcnt vmcnt(0)
	global_atomic_add_x2 v[0:1], v[2:3], off offset:8
.LBB3_1400:
	s_or_b32 exec_lo, exec_lo, s13
	s_waitcnt vmcnt(0)
	global_load_dwordx2 v[2:3], v[0:1], off offset:16
	s_waitcnt vmcnt(0)
	v_cmp_eq_u64_e32 vcc_lo, 0, v[2:3]
	s_cbranch_vccnz .LBB3_1402
; %bb.1401:
	global_load_dword v0, v[0:1], off offset:24
	v_mov_b32_e32 v1, 0
	s_waitcnt vmcnt(0)
	v_and_b32_e32 v4, 0x7fffff, v0
	s_waitcnt_vscnt null, 0x0
	global_store_dwordx2 v[2:3], v[0:1], off
	v_readfirstlane_b32 m0, v4
	s_sendmsg sendmsg(MSG_INTERRUPT)
.LBB3_1402:
	s_or_b32 exec_lo, exec_lo, s5
	s_branch .LBB3_1406
	.p2align	6
.LBB3_1403:                             ;   in Loop: Header=BB3_1406 Depth=1
	s_or_b32 exec_lo, exec_lo, s5
	v_readfirstlane_b32 s5, v0
	s_cmp_eq_u32 s5, 0
	s_cbranch_scc1 .LBB3_1405
; %bb.1404:                             ;   in Loop: Header=BB3_1406 Depth=1
	s_sleep 1
	s_cbranch_execnz .LBB3_1406
	s_branch .LBB3_1408
	.p2align	6
.LBB3_1405:
	s_branch .LBB3_1408
.LBB3_1406:                             ; =>This Inner Loop Header: Depth=1
	v_mov_b32_e32 v0, 1
	s_and_saveexec_b32 s5, s4
	s_cbranch_execz .LBB3_1403
; %bb.1407:                             ;   in Loop: Header=BB3_1406 Depth=1
	global_load_dword v0, v[8:9], off offset:20 glc dlc
	s_waitcnt vmcnt(0)
	buffer_gl1_inv
	buffer_gl0_inv
	v_and_b32_e32 v0, 1, v0
	s_branch .LBB3_1403
.LBB3_1408:
	global_load_dwordx2 v[0:1], v[10:11], off
	s_and_saveexec_b32 s5, s4
	s_cbranch_execz .LBB3_1412
; %bb.1409:
	v_mov_b32_e32 v8, 0
	s_clause 0x2
	global_load_dwordx2 v[4:5], v8, s[26:27] offset:40
	global_load_dwordx2 v[9:10], v8, s[26:27] offset:24 glc dlc
	global_load_dwordx2 v[6:7], v8, s[26:27]
	s_waitcnt vmcnt(2)
	v_add_co_u32 v11, vcc_lo, v4, 1
	v_add_co_ci_u32_e32 v12, vcc_lo, 0, v5, vcc_lo
	v_add_co_u32 v2, vcc_lo, v11, s8
	v_add_co_ci_u32_e32 v3, vcc_lo, s9, v12, vcc_lo
	v_cmp_eq_u64_e32 vcc_lo, 0, v[2:3]
	v_cndmask_b32_e32 v3, v3, v12, vcc_lo
	v_cndmask_b32_e32 v2, v2, v11, vcc_lo
	v_and_b32_e32 v5, v3, v5
	v_and_b32_e32 v4, v2, v4
	v_mul_lo_u32 v5, v5, 24
	v_mul_hi_u32 v11, v4, 24
	v_mul_lo_u32 v4, v4, 24
	v_add_nc_u32_e32 v5, v11, v5
	s_waitcnt vmcnt(0)
	v_add_co_u32 v6, vcc_lo, v6, v4
	v_mov_b32_e32 v4, v9
	v_add_co_ci_u32_e32 v7, vcc_lo, v7, v5, vcc_lo
	v_mov_b32_e32 v5, v10
	global_store_dwordx2 v[6:7], v[9:10], off
	s_waitcnt_vscnt null, 0x0
	global_atomic_cmpswap_x2 v[4:5], v8, v[2:5], s[26:27] offset:24 glc
	s_waitcnt vmcnt(0)
	v_cmp_ne_u64_e32 vcc_lo, v[4:5], v[9:10]
	s_and_b32 exec_lo, exec_lo, vcc_lo
	s_cbranch_execz .LBB3_1412
; %bb.1410:
	s_mov_b32 s4, 0
.LBB3_1411:                             ; =>This Inner Loop Header: Depth=1
	s_sleep 1
	global_store_dwordx2 v[6:7], v[4:5], off
	s_waitcnt_vscnt null, 0x0
	global_atomic_cmpswap_x2 v[9:10], v8, v[2:5], s[26:27] offset:24 glc
	s_waitcnt vmcnt(0)
	v_cmp_eq_u64_e32 vcc_lo, v[9:10], v[4:5]
	v_mov_b32_e32 v4, v9
	v_mov_b32_e32 v5, v10
	s_or_b32 s4, vcc_lo, s4
	s_andn2_b32 exec_lo, exec_lo, s4
	s_cbranch_execnz .LBB3_1411
.LBB3_1412:
	s_or_b32 exec_lo, exec_lo, s5
.LBB3_1413:
	s_getpc_b64 s[8:9]
	s_add_u32 s8, s8, .str.2@rel32@lo+4
	s_addc_u32 s9, s9, .str.2@rel32@hi+12
	s_cmp_lg_u64 s[8:9], 0
	s_cbranch_scc0 .LBB3_1492
; %bb.1414:
	s_waitcnt vmcnt(0)
	v_and_b32_e32 v6, -3, v0
	v_mov_b32_e32 v7, v1
	v_mov_b32_e32 v3, 0
	;; [unrolled: 1-line block ×4, first 2 shown]
	s_mov_b64 s[14:15], 13
	s_branch .LBB3_1416
.LBB3_1415:                             ;   in Loop: Header=BB3_1416 Depth=1
	s_or_b32 exec_lo, exec_lo, s5
	s_sub_u32 s14, s14, s16
	s_subb_u32 s15, s15, s17
	s_add_u32 s8, s8, s16
	s_addc_u32 s9, s9, s17
	s_cmp_lg_u64 s[14:15], 0
	s_cbranch_scc0 .LBB3_1491
.LBB3_1416:                             ; =>This Loop Header: Depth=1
                                        ;     Child Loop BB3_1425 Depth 2
                                        ;     Child Loop BB3_1421 Depth 2
                                        ;     Child Loop BB3_1433 Depth 2
                                        ;     Child Loop BB3_1440 Depth 2
                                        ;     Child Loop BB3_1447 Depth 2
                                        ;     Child Loop BB3_1454 Depth 2
                                        ;     Child Loop BB3_1461 Depth 2
                                        ;     Child Loop BB3_1468 Depth 2
                                        ;     Child Loop BB3_1476 Depth 2
                                        ;     Child Loop BB3_1485 Depth 2
                                        ;     Child Loop BB3_1490 Depth 2
	v_cmp_lt_u64_e64 s4, s[14:15], 56
	v_cmp_gt_u64_e64 s5, s[14:15], 7
                                        ; implicit-def: $sgpr13
	s_and_b32 s4, s4, exec_lo
	s_cselect_b32 s17, s15, 0
	s_cselect_b32 s16, s14, 56
	s_and_b32 vcc_lo, exec_lo, s5
	s_mov_b32 s4, -1
	s_cbranch_vccz .LBB3_1423
; %bb.1417:                             ;   in Loop: Header=BB3_1416 Depth=1
	s_andn2_b32 vcc_lo, exec_lo, s4
	s_mov_b64 s[4:5], s[8:9]
	s_cbranch_vccz .LBB3_1427
.LBB3_1418:                             ;   in Loop: Header=BB3_1416 Depth=1
	s_cmp_gt_u32 s13, 7
	s_cbranch_scc1 .LBB3_1428
.LBB3_1419:                             ;   in Loop: Header=BB3_1416 Depth=1
	v_mov_b32_e32 v10, 0
	v_mov_b32_e32 v11, 0
	s_cmp_eq_u32 s13, 0
	s_cbranch_scc1 .LBB3_1422
; %bb.1420:                             ;   in Loop: Header=BB3_1416 Depth=1
	s_mov_b64 s[18:19], 0
	s_mov_b64 s[20:21], 0
.LBB3_1421:                             ;   Parent Loop BB3_1416 Depth=1
                                        ; =>  This Inner Loop Header: Depth=2
	s_add_u32 s24, s4, s20
	s_addc_u32 s25, s5, s21
	s_add_u32 s20, s20, 1
	global_load_ubyte v2, v3, s[24:25]
	s_addc_u32 s21, s21, 0
	s_waitcnt vmcnt(0)
	v_and_b32_e32 v2, 0xffff, v2
	v_lshlrev_b64 v[12:13], s18, v[2:3]
	s_add_u32 s18, s18, 8
	s_addc_u32 s19, s19, 0
	s_cmp_lg_u32 s13, s20
	v_or_b32_e32 v10, v12, v10
	v_or_b32_e32 v11, v13, v11
	s_cbranch_scc1 .LBB3_1421
.LBB3_1422:                             ;   in Loop: Header=BB3_1416 Depth=1
	s_mov_b32 s23, 0
	s_cbranch_execz .LBB3_1429
	s_branch .LBB3_1430
.LBB3_1423:                             ;   in Loop: Header=BB3_1416 Depth=1
	s_waitcnt vmcnt(0)
	v_mov_b32_e32 v8, 0
	v_mov_b32_e32 v9, 0
	s_cmp_eq_u64 s[14:15], 0
	s_mov_b64 s[4:5], 0
	s_cbranch_scc1 .LBB3_1426
; %bb.1424:                             ;   in Loop: Header=BB3_1416 Depth=1
	v_mov_b32_e32 v8, 0
	v_mov_b32_e32 v9, 0
	s_lshl_b64 s[18:19], s[16:17], 3
	s_mov_b64 s[20:21], s[8:9]
.LBB3_1425:                             ;   Parent Loop BB3_1416 Depth=1
                                        ; =>  This Inner Loop Header: Depth=2
	global_load_ubyte v2, v3, s[20:21]
	s_waitcnt vmcnt(0)
	v_and_b32_e32 v2, 0xffff, v2
	v_lshlrev_b64 v[10:11], s4, v[2:3]
	s_add_u32 s4, s4, 8
	s_addc_u32 s5, s5, 0
	s_add_u32 s20, s20, 1
	s_addc_u32 s21, s21, 0
	s_cmp_lg_u32 s18, s4
	v_or_b32_e32 v8, v10, v8
	v_or_b32_e32 v9, v11, v9
	s_cbranch_scc1 .LBB3_1425
.LBB3_1426:                             ;   in Loop: Header=BB3_1416 Depth=1
	s_mov_b32 s13, 0
	s_mov_b64 s[4:5], s[8:9]
	s_cbranch_execnz .LBB3_1418
.LBB3_1427:                             ;   in Loop: Header=BB3_1416 Depth=1
	global_load_dwordx2 v[8:9], v3, s[8:9]
	s_add_i32 s13, s16, -8
	s_add_u32 s4, s8, 8
	s_addc_u32 s5, s9, 0
	s_cmp_gt_u32 s13, 7
	s_cbranch_scc0 .LBB3_1419
.LBB3_1428:                             ;   in Loop: Header=BB3_1416 Depth=1
                                        ; implicit-def: $vgpr10_vgpr11
                                        ; implicit-def: $sgpr23
.LBB3_1429:                             ;   in Loop: Header=BB3_1416 Depth=1
	global_load_dwordx2 v[10:11], v3, s[4:5]
	s_add_i32 s23, s13, -8
	s_add_u32 s4, s4, 8
	s_addc_u32 s5, s5, 0
.LBB3_1430:                             ;   in Loop: Header=BB3_1416 Depth=1
	s_cmp_gt_u32 s23, 7
	s_cbranch_scc1 .LBB3_1435
; %bb.1431:                             ;   in Loop: Header=BB3_1416 Depth=1
	v_mov_b32_e32 v12, 0
	v_mov_b32_e32 v13, 0
	s_cmp_eq_u32 s23, 0
	s_cbranch_scc1 .LBB3_1434
; %bb.1432:                             ;   in Loop: Header=BB3_1416 Depth=1
	s_mov_b64 s[18:19], 0
	s_mov_b64 s[20:21], 0
.LBB3_1433:                             ;   Parent Loop BB3_1416 Depth=1
                                        ; =>  This Inner Loop Header: Depth=2
	s_add_u32 s24, s4, s20
	s_addc_u32 s25, s5, s21
	s_add_u32 s20, s20, 1
	global_load_ubyte v2, v3, s[24:25]
	s_addc_u32 s21, s21, 0
	s_waitcnt vmcnt(0)
	v_and_b32_e32 v2, 0xffff, v2
	v_lshlrev_b64 v[14:15], s18, v[2:3]
	s_add_u32 s18, s18, 8
	s_addc_u32 s19, s19, 0
	s_cmp_lg_u32 s23, s20
	v_or_b32_e32 v12, v14, v12
	v_or_b32_e32 v13, v15, v13
	s_cbranch_scc1 .LBB3_1433
.LBB3_1434:                             ;   in Loop: Header=BB3_1416 Depth=1
	s_mov_b32 s13, 0
	s_cbranch_execz .LBB3_1436
	s_branch .LBB3_1437
.LBB3_1435:                             ;   in Loop: Header=BB3_1416 Depth=1
                                        ; implicit-def: $sgpr13
.LBB3_1436:                             ;   in Loop: Header=BB3_1416 Depth=1
	global_load_dwordx2 v[12:13], v3, s[4:5]
	s_add_i32 s13, s23, -8
	s_add_u32 s4, s4, 8
	s_addc_u32 s5, s5, 0
.LBB3_1437:                             ;   in Loop: Header=BB3_1416 Depth=1
	s_cmp_gt_u32 s13, 7
	s_cbranch_scc1 .LBB3_1442
; %bb.1438:                             ;   in Loop: Header=BB3_1416 Depth=1
	v_mov_b32_e32 v14, 0
	v_mov_b32_e32 v15, 0
	s_cmp_eq_u32 s13, 0
	s_cbranch_scc1 .LBB3_1441
; %bb.1439:                             ;   in Loop: Header=BB3_1416 Depth=1
	s_mov_b64 s[18:19], 0
	s_mov_b64 s[20:21], 0
.LBB3_1440:                             ;   Parent Loop BB3_1416 Depth=1
                                        ; =>  This Inner Loop Header: Depth=2
	s_add_u32 s24, s4, s20
	s_addc_u32 s25, s5, s21
	s_add_u32 s20, s20, 1
	global_load_ubyte v2, v3, s[24:25]
	s_addc_u32 s21, s21, 0
	s_waitcnt vmcnt(0)
	v_and_b32_e32 v2, 0xffff, v2
	v_lshlrev_b64 v[16:17], s18, v[2:3]
	s_add_u32 s18, s18, 8
	s_addc_u32 s19, s19, 0
	s_cmp_lg_u32 s13, s20
	v_or_b32_e32 v14, v16, v14
	v_or_b32_e32 v15, v17, v15
	s_cbranch_scc1 .LBB3_1440
.LBB3_1441:                             ;   in Loop: Header=BB3_1416 Depth=1
	s_mov_b32 s23, 0
	s_cbranch_execz .LBB3_1443
	s_branch .LBB3_1444
.LBB3_1442:                             ;   in Loop: Header=BB3_1416 Depth=1
                                        ; implicit-def: $vgpr14_vgpr15
                                        ; implicit-def: $sgpr23
.LBB3_1443:                             ;   in Loop: Header=BB3_1416 Depth=1
	global_load_dwordx2 v[14:15], v3, s[4:5]
	s_add_i32 s23, s13, -8
	s_add_u32 s4, s4, 8
	s_addc_u32 s5, s5, 0
.LBB3_1444:                             ;   in Loop: Header=BB3_1416 Depth=1
	s_cmp_gt_u32 s23, 7
	s_cbranch_scc1 .LBB3_1449
; %bb.1445:                             ;   in Loop: Header=BB3_1416 Depth=1
	v_mov_b32_e32 v16, 0
	v_mov_b32_e32 v17, 0
	s_cmp_eq_u32 s23, 0
	s_cbranch_scc1 .LBB3_1448
; %bb.1446:                             ;   in Loop: Header=BB3_1416 Depth=1
	s_mov_b64 s[18:19], 0
	s_mov_b64 s[20:21], 0
.LBB3_1447:                             ;   Parent Loop BB3_1416 Depth=1
                                        ; =>  This Inner Loop Header: Depth=2
	s_add_u32 s24, s4, s20
	s_addc_u32 s25, s5, s21
	s_add_u32 s20, s20, 1
	global_load_ubyte v2, v3, s[24:25]
	s_addc_u32 s21, s21, 0
	s_waitcnt vmcnt(0)
	v_and_b32_e32 v2, 0xffff, v2
	v_lshlrev_b64 v[18:19], s18, v[2:3]
	s_add_u32 s18, s18, 8
	s_addc_u32 s19, s19, 0
	s_cmp_lg_u32 s23, s20
	v_or_b32_e32 v16, v18, v16
	v_or_b32_e32 v17, v19, v17
	s_cbranch_scc1 .LBB3_1447
.LBB3_1448:                             ;   in Loop: Header=BB3_1416 Depth=1
	s_mov_b32 s13, 0
	s_cbranch_execz .LBB3_1450
	s_branch .LBB3_1451
.LBB3_1449:                             ;   in Loop: Header=BB3_1416 Depth=1
                                        ; implicit-def: $sgpr13
.LBB3_1450:                             ;   in Loop: Header=BB3_1416 Depth=1
	global_load_dwordx2 v[16:17], v3, s[4:5]
	s_add_i32 s13, s23, -8
	s_add_u32 s4, s4, 8
	s_addc_u32 s5, s5, 0
.LBB3_1451:                             ;   in Loop: Header=BB3_1416 Depth=1
	s_cmp_gt_u32 s13, 7
	s_cbranch_scc1 .LBB3_1456
; %bb.1452:                             ;   in Loop: Header=BB3_1416 Depth=1
	v_mov_b32_e32 v18, 0
	v_mov_b32_e32 v19, 0
	s_cmp_eq_u32 s13, 0
	s_cbranch_scc1 .LBB3_1455
; %bb.1453:                             ;   in Loop: Header=BB3_1416 Depth=1
	s_mov_b64 s[18:19], 0
	s_mov_b64 s[20:21], 0
.LBB3_1454:                             ;   Parent Loop BB3_1416 Depth=1
                                        ; =>  This Inner Loop Header: Depth=2
	s_add_u32 s24, s4, s20
	s_addc_u32 s25, s5, s21
	s_add_u32 s20, s20, 1
	global_load_ubyte v2, v3, s[24:25]
	s_addc_u32 s21, s21, 0
	s_waitcnt vmcnt(0)
	v_and_b32_e32 v2, 0xffff, v2
	v_lshlrev_b64 v[20:21], s18, v[2:3]
	s_add_u32 s18, s18, 8
	s_addc_u32 s19, s19, 0
	s_cmp_lg_u32 s13, s20
	v_or_b32_e32 v18, v20, v18
	v_or_b32_e32 v19, v21, v19
	s_cbranch_scc1 .LBB3_1454
.LBB3_1455:                             ;   in Loop: Header=BB3_1416 Depth=1
	s_mov_b32 s23, 0
	s_cbranch_execz .LBB3_1457
	s_branch .LBB3_1458
.LBB3_1456:                             ;   in Loop: Header=BB3_1416 Depth=1
                                        ; implicit-def: $vgpr18_vgpr19
                                        ; implicit-def: $sgpr23
.LBB3_1457:                             ;   in Loop: Header=BB3_1416 Depth=1
	global_load_dwordx2 v[18:19], v3, s[4:5]
	s_add_i32 s23, s13, -8
	s_add_u32 s4, s4, 8
	s_addc_u32 s5, s5, 0
.LBB3_1458:                             ;   in Loop: Header=BB3_1416 Depth=1
	s_cmp_gt_u32 s23, 7
	s_cbranch_scc1 .LBB3_1463
; %bb.1459:                             ;   in Loop: Header=BB3_1416 Depth=1
	v_mov_b32_e32 v20, 0
	v_mov_b32_e32 v21, 0
	s_cmp_eq_u32 s23, 0
	s_cbranch_scc1 .LBB3_1462
; %bb.1460:                             ;   in Loop: Header=BB3_1416 Depth=1
	s_mov_b64 s[18:19], 0
	s_mov_b64 s[20:21], s[4:5]
.LBB3_1461:                             ;   Parent Loop BB3_1416 Depth=1
                                        ; =>  This Inner Loop Header: Depth=2
	global_load_ubyte v2, v3, s[20:21]
	s_add_i32 s23, s23, -1
	s_waitcnt vmcnt(0)
	v_and_b32_e32 v2, 0xffff, v2
	v_lshlrev_b64 v[22:23], s18, v[2:3]
	s_add_u32 s18, s18, 8
	s_addc_u32 s19, s19, 0
	s_add_u32 s20, s20, 1
	s_addc_u32 s21, s21, 0
	s_cmp_lg_u32 s23, 0
	v_or_b32_e32 v20, v22, v20
	v_or_b32_e32 v21, v23, v21
	s_cbranch_scc1 .LBB3_1461
.LBB3_1462:                             ;   in Loop: Header=BB3_1416 Depth=1
	s_cbranch_execz .LBB3_1464
	s_branch .LBB3_1465
.LBB3_1463:                             ;   in Loop: Header=BB3_1416 Depth=1
.LBB3_1464:                             ;   in Loop: Header=BB3_1416 Depth=1
	global_load_dwordx2 v[20:21], v3, s[4:5]
.LBB3_1465:                             ;   in Loop: Header=BB3_1416 Depth=1
	v_readfirstlane_b32 s4, v37
	v_mov_b32_e32 v26, 0
	v_mov_b32_e32 v27, 0
	v_cmp_eq_u32_e64 s4, s4, v37
	s_and_saveexec_b32 s5, s4
	s_cbranch_execz .LBB3_1471
; %bb.1466:                             ;   in Loop: Header=BB3_1416 Depth=1
	global_load_dwordx2 v[24:25], v3, s[26:27] offset:24 glc dlc
	s_waitcnt vmcnt(0)
	buffer_gl1_inv
	buffer_gl0_inv
	s_clause 0x1
	global_load_dwordx2 v[22:23], v3, s[26:27] offset:40
	global_load_dwordx2 v[26:27], v3, s[26:27]
	s_mov_b32 s13, exec_lo
	s_waitcnt vmcnt(1)
	v_and_b32_e32 v2, v23, v25
	v_and_b32_e32 v22, v22, v24
	v_mul_lo_u32 v2, v2, 24
	v_mul_hi_u32 v23, v22, 24
	v_mul_lo_u32 v22, v22, 24
	v_add_nc_u32_e32 v2, v23, v2
	s_waitcnt vmcnt(0)
	v_add_co_u32 v22, vcc_lo, v26, v22
	v_add_co_ci_u32_e32 v23, vcc_lo, v27, v2, vcc_lo
	global_load_dwordx2 v[22:23], v[22:23], off glc dlc
	s_waitcnt vmcnt(0)
	global_atomic_cmpswap_x2 v[26:27], v3, v[22:25], s[26:27] offset:24 glc
	s_waitcnt vmcnt(0)
	buffer_gl1_inv
	buffer_gl0_inv
	v_cmpx_ne_u64_e64 v[26:27], v[24:25]
	s_cbranch_execz .LBB3_1470
; %bb.1467:                             ;   in Loop: Header=BB3_1416 Depth=1
	s_mov_b32 s18, 0
	.p2align	6
.LBB3_1468:                             ;   Parent Loop BB3_1416 Depth=1
                                        ; =>  This Inner Loop Header: Depth=2
	s_sleep 1
	s_clause 0x1
	global_load_dwordx2 v[22:23], v3, s[26:27] offset:40
	global_load_dwordx2 v[28:29], v3, s[26:27]
	v_mov_b32_e32 v24, v26
	v_mov_b32_e32 v25, v27
	s_waitcnt vmcnt(1)
	v_and_b32_e32 v2, v22, v24
	v_and_b32_e32 v22, v23, v25
	s_waitcnt vmcnt(0)
	v_mad_u64_u32 v[26:27], null, v2, 24, v[28:29]
	v_mov_b32_e32 v2, v27
	v_mad_u64_u32 v[22:23], null, v22, 24, v[2:3]
	v_mov_b32_e32 v27, v22
	global_load_dwordx2 v[22:23], v[26:27], off glc dlc
	s_waitcnt vmcnt(0)
	global_atomic_cmpswap_x2 v[26:27], v3, v[22:25], s[26:27] offset:24 glc
	s_waitcnt vmcnt(0)
	buffer_gl1_inv
	buffer_gl0_inv
	v_cmp_eq_u64_e32 vcc_lo, v[26:27], v[24:25]
	s_or_b32 s18, vcc_lo, s18
	s_andn2_b32 exec_lo, exec_lo, s18
	s_cbranch_execnz .LBB3_1468
; %bb.1469:                             ;   in Loop: Header=BB3_1416 Depth=1
	s_or_b32 exec_lo, exec_lo, s18
.LBB3_1470:                             ;   in Loop: Header=BB3_1416 Depth=1
	s_or_b32 exec_lo, exec_lo, s13
.LBB3_1471:                             ;   in Loop: Header=BB3_1416 Depth=1
	s_or_b32 exec_lo, exec_lo, s5
	s_clause 0x1
	global_load_dwordx2 v[28:29], v3, s[26:27] offset:40
	global_load_dwordx4 v[22:25], v3, s[26:27]
	v_readfirstlane_b32 s18, v26
	v_readfirstlane_b32 s19, v27
	s_mov_b32 s5, exec_lo
	s_waitcnt vmcnt(1)
	v_readfirstlane_b32 s20, v28
	v_readfirstlane_b32 s21, v29
	s_and_b64 s[20:21], s[18:19], s[20:21]
	s_mul_i32 s13, s21, 24
	s_mul_hi_u32 s23, s20, 24
	s_mul_i32 s24, s20, 24
	s_add_i32 s23, s23, s13
	s_waitcnt vmcnt(0)
	v_add_co_u32 v26, vcc_lo, v22, s24
	v_add_co_ci_u32_e32 v27, vcc_lo, s23, v23, vcc_lo
	s_and_saveexec_b32 s13, s4
	s_cbranch_execz .LBB3_1473
; %bb.1472:                             ;   in Loop: Header=BB3_1416 Depth=1
	v_mov_b32_e32 v2, s5
	global_store_dwordx4 v[26:27], v[2:5], off offset:8
.LBB3_1473:                             ;   in Loop: Header=BB3_1416 Depth=1
	s_or_b32 exec_lo, exec_lo, s13
	s_lshl_b64 s[20:21], s[20:21], 12
	v_or_b32_e32 v2, 2, v6
	v_add_co_u32 v24, vcc_lo, v24, s20
	v_add_co_ci_u32_e32 v25, vcc_lo, s21, v25, vcc_lo
	v_cmp_gt_u64_e64 vcc_lo, s[14:15], 56
	s_lshl_b32 s5, s16, 2
	v_readfirstlane_b32 s20, v24
	s_add_i32 s5, s5, 28
	v_readfirstlane_b32 s21, v25
	s_and_b32 s5, s5, 0x1e0
	v_cndmask_b32_e32 v2, v2, v6, vcc_lo
	v_and_or_b32 v6, 0xffffff1f, v2, s5
	global_store_dwordx4 v36, v[10:13], s[20:21] offset:16
	global_store_dwordx4 v36, v[6:9], s[20:21]
	global_store_dwordx4 v36, v[14:17], s[20:21] offset:32
	global_store_dwordx4 v36, v[18:21], s[20:21] offset:48
	s_and_saveexec_b32 s5, s4
	s_cbranch_execz .LBB3_1481
; %bb.1474:                             ;   in Loop: Header=BB3_1416 Depth=1
	s_clause 0x1
	global_load_dwordx2 v[14:15], v3, s[26:27] offset:32 glc dlc
	global_load_dwordx2 v[6:7], v3, s[26:27] offset:40
	v_mov_b32_e32 v12, s18
	v_mov_b32_e32 v13, s19
	s_waitcnt vmcnt(0)
	v_readfirstlane_b32 s20, v6
	v_readfirstlane_b32 s21, v7
	s_and_b64 s[20:21], s[20:21], s[18:19]
	s_mul_i32 s13, s21, 24
	s_mul_hi_u32 s21, s20, 24
	s_mul_i32 s20, s20, 24
	s_add_i32 s21, s21, s13
	v_add_co_u32 v10, vcc_lo, v22, s20
	v_add_co_ci_u32_e32 v11, vcc_lo, s21, v23, vcc_lo
	s_mov_b32 s13, exec_lo
	global_store_dwordx2 v[10:11], v[14:15], off
	s_waitcnt_vscnt null, 0x0
	global_atomic_cmpswap_x2 v[8:9], v3, v[12:15], s[26:27] offset:32 glc
	s_waitcnt vmcnt(0)
	v_cmpx_ne_u64_e64 v[8:9], v[14:15]
	s_cbranch_execz .LBB3_1477
; %bb.1475:                             ;   in Loop: Header=BB3_1416 Depth=1
	s_mov_b32 s20, 0
.LBB3_1476:                             ;   Parent Loop BB3_1416 Depth=1
                                        ; =>  This Inner Loop Header: Depth=2
	v_mov_b32_e32 v6, s18
	v_mov_b32_e32 v7, s19
	s_sleep 1
	global_store_dwordx2 v[10:11], v[8:9], off
	s_waitcnt_vscnt null, 0x0
	global_atomic_cmpswap_x2 v[6:7], v3, v[6:9], s[26:27] offset:32 glc
	s_waitcnt vmcnt(0)
	v_cmp_eq_u64_e32 vcc_lo, v[6:7], v[8:9]
	v_mov_b32_e32 v9, v7
	v_mov_b32_e32 v8, v6
	s_or_b32 s20, vcc_lo, s20
	s_andn2_b32 exec_lo, exec_lo, s20
	s_cbranch_execnz .LBB3_1476
.LBB3_1477:                             ;   in Loop: Header=BB3_1416 Depth=1
	s_or_b32 exec_lo, exec_lo, s13
	global_load_dwordx2 v[6:7], v3, s[26:27] offset:16
	s_mov_b32 s20, exec_lo
	s_mov_b32 s13, exec_lo
	v_mbcnt_lo_u32_b32 v2, s20, 0
	v_cmpx_eq_u32_e32 0, v2
	s_cbranch_execz .LBB3_1479
; %bb.1478:                             ;   in Loop: Header=BB3_1416 Depth=1
	s_bcnt1_i32_b32 s20, s20
	v_mov_b32_e32 v2, s20
	s_waitcnt vmcnt(0)
	global_atomic_add_x2 v[6:7], v[2:3], off offset:8
.LBB3_1479:                             ;   in Loop: Header=BB3_1416 Depth=1
	s_or_b32 exec_lo, exec_lo, s13
	s_waitcnt vmcnt(0)
	global_load_dwordx2 v[8:9], v[6:7], off offset:16
	s_waitcnt vmcnt(0)
	v_cmp_eq_u64_e32 vcc_lo, 0, v[8:9]
	s_cbranch_vccnz .LBB3_1481
; %bb.1480:                             ;   in Loop: Header=BB3_1416 Depth=1
	global_load_dword v2, v[6:7], off offset:24
	s_waitcnt vmcnt(0)
	v_and_b32_e32 v6, 0x7fffff, v2
	s_waitcnt_vscnt null, 0x0
	global_store_dwordx2 v[8:9], v[2:3], off
	v_readfirstlane_b32 m0, v6
	s_sendmsg sendmsg(MSG_INTERRUPT)
.LBB3_1481:                             ;   in Loop: Header=BB3_1416 Depth=1
	s_or_b32 exec_lo, exec_lo, s5
	v_add_co_u32 v6, vcc_lo, v24, v36
	v_add_co_ci_u32_e32 v7, vcc_lo, 0, v25, vcc_lo
	s_branch .LBB3_1485
	.p2align	6
.LBB3_1482:                             ;   in Loop: Header=BB3_1485 Depth=2
	s_or_b32 exec_lo, exec_lo, s5
	v_readfirstlane_b32 s5, v2
	s_cmp_eq_u32 s5, 0
	s_cbranch_scc1 .LBB3_1484
; %bb.1483:                             ;   in Loop: Header=BB3_1485 Depth=2
	s_sleep 1
	s_cbranch_execnz .LBB3_1485
	s_branch .LBB3_1487
	.p2align	6
.LBB3_1484:                             ;   in Loop: Header=BB3_1416 Depth=1
	s_branch .LBB3_1487
.LBB3_1485:                             ;   Parent Loop BB3_1416 Depth=1
                                        ; =>  This Inner Loop Header: Depth=2
	v_mov_b32_e32 v2, 1
	s_and_saveexec_b32 s5, s4
	s_cbranch_execz .LBB3_1482
; %bb.1486:                             ;   in Loop: Header=BB3_1485 Depth=2
	global_load_dword v2, v[26:27], off offset:20 glc dlc
	s_waitcnt vmcnt(0)
	buffer_gl1_inv
	buffer_gl0_inv
	v_and_b32_e32 v2, 1, v2
	s_branch .LBB3_1482
.LBB3_1487:                             ;   in Loop: Header=BB3_1416 Depth=1
	global_load_dwordx4 v[6:9], v[6:7], off
	s_and_saveexec_b32 s5, s4
	s_cbranch_execz .LBB3_1415
; %bb.1488:                             ;   in Loop: Header=BB3_1416 Depth=1
	s_clause 0x2
	global_load_dwordx2 v[10:11], v3, s[26:27] offset:40
	global_load_dwordx2 v[14:15], v3, s[26:27] offset:24 glc dlc
	global_load_dwordx2 v[12:13], v3, s[26:27]
	s_waitcnt vmcnt(2)
	v_add_co_u32 v2, vcc_lo, v10, 1
	v_add_co_ci_u32_e32 v16, vcc_lo, 0, v11, vcc_lo
	v_add_co_u32 v8, vcc_lo, v2, s18
	v_add_co_ci_u32_e32 v9, vcc_lo, s19, v16, vcc_lo
	v_cmp_eq_u64_e32 vcc_lo, 0, v[8:9]
	v_cndmask_b32_e32 v9, v9, v16, vcc_lo
	v_cndmask_b32_e32 v8, v8, v2, vcc_lo
	v_and_b32_e32 v2, v9, v11
	v_and_b32_e32 v10, v8, v10
	v_mul_lo_u32 v2, v2, 24
	v_mul_hi_u32 v11, v10, 24
	v_mul_lo_u32 v10, v10, 24
	v_add_nc_u32_e32 v2, v11, v2
	s_waitcnt vmcnt(0)
	v_add_co_u32 v12, vcc_lo, v12, v10
	v_mov_b32_e32 v10, v14
	v_mov_b32_e32 v11, v15
	v_add_co_ci_u32_e32 v13, vcc_lo, v13, v2, vcc_lo
	global_store_dwordx2 v[12:13], v[14:15], off
	s_waitcnt_vscnt null, 0x0
	global_atomic_cmpswap_x2 v[10:11], v3, v[8:11], s[26:27] offset:24 glc
	s_waitcnt vmcnt(0)
	v_cmp_ne_u64_e32 vcc_lo, v[10:11], v[14:15]
	s_and_b32 exec_lo, exec_lo, vcc_lo
	s_cbranch_execz .LBB3_1415
; %bb.1489:                             ;   in Loop: Header=BB3_1416 Depth=1
	s_mov_b32 s4, 0
.LBB3_1490:                             ;   Parent Loop BB3_1416 Depth=1
                                        ; =>  This Inner Loop Header: Depth=2
	s_sleep 1
	global_store_dwordx2 v[12:13], v[10:11], off
	s_waitcnt_vscnt null, 0x0
	global_atomic_cmpswap_x2 v[14:15], v3, v[8:11], s[26:27] offset:24 glc
	s_waitcnt vmcnt(0)
	v_cmp_eq_u64_e32 vcc_lo, v[14:15], v[10:11]
	v_mov_b32_e32 v10, v14
	v_mov_b32_e32 v11, v15
	s_or_b32 s4, vcc_lo, s4
	s_andn2_b32 exec_lo, exec_lo, s4
	s_cbranch_execnz .LBB3_1490
	s_branch .LBB3_1415
.LBB3_1491:
	s_mov_b32 s4, 0
	s_branch .LBB3_1493
.LBB3_1492:
	s_mov_b32 s4, -1
.LBB3_1493:
	s_mov_b32 s36, s10
	s_mov_b32 s37, s11
	s_mov_b32 s38, s12
	s_and_b32 vcc_lo, exec_lo, s4
	s_cbranch_vccz .LBB3_1521
; %bb.1494:
	v_readfirstlane_b32 s4, v37
	s_waitcnt vmcnt(0)
	v_mov_b32_e32 v8, 0
	v_mov_b32_e32 v9, 0
	v_cmp_eq_u32_e64 s4, s4, v37
	s_and_saveexec_b32 s5, s4
	s_cbranch_execz .LBB3_1500
; %bb.1495:
	v_mov_b32_e32 v2, 0
	s_mov_b32 s8, exec_lo
	global_load_dwordx2 v[5:6], v2, s[26:27] offset:24 glc dlc
	s_waitcnt vmcnt(0)
	buffer_gl1_inv
	buffer_gl0_inv
	s_clause 0x1
	global_load_dwordx2 v[3:4], v2, s[26:27] offset:40
	global_load_dwordx2 v[7:8], v2, s[26:27]
	s_waitcnt vmcnt(1)
	v_and_b32_e32 v4, v4, v6
	v_and_b32_e32 v3, v3, v5
	v_mul_lo_u32 v4, v4, 24
	v_mul_hi_u32 v9, v3, 24
	v_mul_lo_u32 v3, v3, 24
	v_add_nc_u32_e32 v4, v9, v4
	s_waitcnt vmcnt(0)
	v_add_co_u32 v3, vcc_lo, v7, v3
	v_add_co_ci_u32_e32 v4, vcc_lo, v8, v4, vcc_lo
	global_load_dwordx2 v[3:4], v[3:4], off glc dlc
	s_waitcnt vmcnt(0)
	global_atomic_cmpswap_x2 v[8:9], v2, v[3:6], s[26:27] offset:24 glc
	s_waitcnt vmcnt(0)
	buffer_gl1_inv
	buffer_gl0_inv
	v_cmpx_ne_u64_e64 v[8:9], v[5:6]
	s_cbranch_execz .LBB3_1499
; %bb.1496:
	s_mov_b32 s9, 0
	.p2align	6
.LBB3_1497:                             ; =>This Inner Loop Header: Depth=1
	s_sleep 1
	s_clause 0x1
	global_load_dwordx2 v[3:4], v2, s[26:27] offset:40
	global_load_dwordx2 v[10:11], v2, s[26:27]
	v_mov_b32_e32 v5, v8
	v_mov_b32_e32 v6, v9
	s_waitcnt vmcnt(1)
	v_and_b32_e32 v3, v3, v5
	v_and_b32_e32 v4, v4, v6
	s_waitcnt vmcnt(0)
	v_mad_u64_u32 v[7:8], null, v3, 24, v[10:11]
	v_mov_b32_e32 v3, v8
	v_mad_u64_u32 v[3:4], null, v4, 24, v[3:4]
	v_mov_b32_e32 v8, v3
	global_load_dwordx2 v[3:4], v[7:8], off glc dlc
	s_waitcnt vmcnt(0)
	global_atomic_cmpswap_x2 v[8:9], v2, v[3:6], s[26:27] offset:24 glc
	s_waitcnt vmcnt(0)
	buffer_gl1_inv
	buffer_gl0_inv
	v_cmp_eq_u64_e32 vcc_lo, v[8:9], v[5:6]
	s_or_b32 s9, vcc_lo, s9
	s_andn2_b32 exec_lo, exec_lo, s9
	s_cbranch_execnz .LBB3_1497
; %bb.1498:
	s_or_b32 exec_lo, exec_lo, s9
.LBB3_1499:
	s_or_b32 exec_lo, exec_lo, s8
.LBB3_1500:
	s_or_b32 exec_lo, exec_lo, s5
	v_mov_b32_e32 v2, 0
	v_readfirstlane_b32 s8, v8
	v_readfirstlane_b32 s9, v9
	s_mov_b32 s5, exec_lo
	s_clause 0x1
	global_load_dwordx2 v[10:11], v2, s[26:27] offset:40
	global_load_dwordx4 v[4:7], v2, s[26:27]
	s_waitcnt vmcnt(1)
	v_readfirstlane_b32 s10, v10
	v_readfirstlane_b32 s11, v11
	s_and_b64 s[10:11], s[8:9], s[10:11]
	s_mul_i32 s12, s11, 24
	s_mul_hi_u32 s13, s10, 24
	s_mul_i32 s14, s10, 24
	s_add_i32 s13, s13, s12
	s_waitcnt vmcnt(0)
	v_add_co_u32 v8, vcc_lo, v4, s14
	v_add_co_ci_u32_e32 v9, vcc_lo, s13, v5, vcc_lo
	s_and_saveexec_b32 s12, s4
	s_cbranch_execz .LBB3_1502
; %bb.1501:
	v_mov_b32_e32 v10, s5
	v_mov_b32_e32 v11, v2
	;; [unrolled: 1-line block ×4, first 2 shown]
	global_store_dwordx4 v[8:9], v[10:13], off offset:8
.LBB3_1502:
	s_or_b32 exec_lo, exec_lo, s12
	s_lshl_b64 s[10:11], s[10:11], 12
	s_mov_b32 s12, 0
	v_add_co_u32 v6, vcc_lo, v6, s10
	v_add_co_ci_u32_e32 v7, vcc_lo, s11, v7, vcc_lo
	s_mov_b32 s13, s12
	s_mov_b32 s14, s12
	;; [unrolled: 1-line block ×3, first 2 shown]
	v_and_or_b32 v0, 0xffffff1d, v0, 34
	v_mov_b32_e32 v3, v2
	v_readfirstlane_b32 s10, v6
	v_readfirstlane_b32 s11, v7
	v_mov_b32_e32 v10, s12
	v_mov_b32_e32 v11, s13
	;; [unrolled: 1-line block ×4, first 2 shown]
	global_store_dwordx4 v36, v[0:3], s[10:11]
	global_store_dwordx4 v36, v[10:13], s[10:11] offset:16
	global_store_dwordx4 v36, v[10:13], s[10:11] offset:32
	;; [unrolled: 1-line block ×3, first 2 shown]
	s_and_saveexec_b32 s5, s4
	s_cbranch_execz .LBB3_1510
; %bb.1503:
	v_mov_b32_e32 v6, 0
	v_mov_b32_e32 v10, s8
	;; [unrolled: 1-line block ×3, first 2 shown]
	s_clause 0x1
	global_load_dwordx2 v[12:13], v6, s[26:27] offset:32 glc dlc
	global_load_dwordx2 v[0:1], v6, s[26:27] offset:40
	s_waitcnt vmcnt(0)
	v_readfirstlane_b32 s10, v0
	v_readfirstlane_b32 s11, v1
	s_and_b64 s[10:11], s[10:11], s[8:9]
	s_mul_i32 s11, s11, 24
	s_mul_hi_u32 s12, s10, 24
	s_mul_i32 s10, s10, 24
	s_add_i32 s12, s12, s11
	v_add_co_u32 v4, vcc_lo, v4, s10
	v_add_co_ci_u32_e32 v5, vcc_lo, s12, v5, vcc_lo
	s_mov_b32 s10, exec_lo
	global_store_dwordx2 v[4:5], v[12:13], off
	s_waitcnt_vscnt null, 0x0
	global_atomic_cmpswap_x2 v[2:3], v6, v[10:13], s[26:27] offset:32 glc
	s_waitcnt vmcnt(0)
	v_cmpx_ne_u64_e64 v[2:3], v[12:13]
	s_cbranch_execz .LBB3_1506
; %bb.1504:
	s_mov_b32 s11, 0
.LBB3_1505:                             ; =>This Inner Loop Header: Depth=1
	v_mov_b32_e32 v0, s8
	v_mov_b32_e32 v1, s9
	s_sleep 1
	global_store_dwordx2 v[4:5], v[2:3], off
	s_waitcnt_vscnt null, 0x0
	global_atomic_cmpswap_x2 v[0:1], v6, v[0:3], s[26:27] offset:32 glc
	s_waitcnt vmcnt(0)
	v_cmp_eq_u64_e32 vcc_lo, v[0:1], v[2:3]
	v_mov_b32_e32 v3, v1
	v_mov_b32_e32 v2, v0
	s_or_b32 s11, vcc_lo, s11
	s_andn2_b32 exec_lo, exec_lo, s11
	s_cbranch_execnz .LBB3_1505
.LBB3_1506:
	s_or_b32 exec_lo, exec_lo, s10
	v_mov_b32_e32 v3, 0
	s_mov_b32 s11, exec_lo
	s_mov_b32 s10, exec_lo
	v_mbcnt_lo_u32_b32 v2, s11, 0
	global_load_dwordx2 v[0:1], v3, s[26:27] offset:16
	v_cmpx_eq_u32_e32 0, v2
	s_cbranch_execz .LBB3_1508
; %bb.1507:
	s_bcnt1_i32_b32 s11, s11
	v_mov_b32_e32 v2, s11
	s_waitcnt vmcnt(0)
	global_atomic_add_x2 v[0:1], v[2:3], off offset:8
.LBB3_1508:
	s_or_b32 exec_lo, exec_lo, s10
	s_waitcnt vmcnt(0)
	global_load_dwordx2 v[2:3], v[0:1], off offset:16
	s_waitcnt vmcnt(0)
	v_cmp_eq_u64_e32 vcc_lo, 0, v[2:3]
	s_cbranch_vccnz .LBB3_1510
; %bb.1509:
	global_load_dword v0, v[0:1], off offset:24
	v_mov_b32_e32 v1, 0
	s_waitcnt vmcnt(0)
	v_and_b32_e32 v4, 0x7fffff, v0
	s_waitcnt_vscnt null, 0x0
	global_store_dwordx2 v[2:3], v[0:1], off
	v_readfirstlane_b32 m0, v4
	s_sendmsg sendmsg(MSG_INTERRUPT)
.LBB3_1510:
	s_or_b32 exec_lo, exec_lo, s5
	s_branch .LBB3_1514
	.p2align	6
.LBB3_1511:                             ;   in Loop: Header=BB3_1514 Depth=1
	s_or_b32 exec_lo, exec_lo, s5
	v_readfirstlane_b32 s5, v0
	s_cmp_eq_u32 s5, 0
	s_cbranch_scc1 .LBB3_1513
; %bb.1512:                             ;   in Loop: Header=BB3_1514 Depth=1
	s_sleep 1
	s_cbranch_execnz .LBB3_1514
	s_branch .LBB3_1516
	.p2align	6
.LBB3_1513:
	s_branch .LBB3_1516
.LBB3_1514:                             ; =>This Inner Loop Header: Depth=1
	v_mov_b32_e32 v0, 1
	s_and_saveexec_b32 s5, s4
	s_cbranch_execz .LBB3_1511
; %bb.1515:                             ;   in Loop: Header=BB3_1514 Depth=1
	global_load_dword v0, v[8:9], off offset:20 glc dlc
	s_waitcnt vmcnt(0)
	buffer_gl1_inv
	buffer_gl0_inv
	v_and_b32_e32 v0, 1, v0
	s_branch .LBB3_1511
.LBB3_1516:
	s_and_saveexec_b32 s5, s4
	s_cbranch_execz .LBB3_1520
; %bb.1517:
	v_mov_b32_e32 v6, 0
	s_clause 0x2
	global_load_dwordx2 v[2:3], v6, s[26:27] offset:40
	global_load_dwordx2 v[7:8], v6, s[26:27] offset:24 glc dlc
	global_load_dwordx2 v[4:5], v6, s[26:27]
	s_waitcnt vmcnt(2)
	v_add_co_u32 v9, vcc_lo, v2, 1
	v_add_co_ci_u32_e32 v10, vcc_lo, 0, v3, vcc_lo
	v_add_co_u32 v0, vcc_lo, v9, s8
	v_add_co_ci_u32_e32 v1, vcc_lo, s9, v10, vcc_lo
	v_cmp_eq_u64_e32 vcc_lo, 0, v[0:1]
	v_cndmask_b32_e32 v1, v1, v10, vcc_lo
	v_cndmask_b32_e32 v0, v0, v9, vcc_lo
	v_and_b32_e32 v3, v1, v3
	v_and_b32_e32 v2, v0, v2
	v_mul_lo_u32 v3, v3, 24
	v_mul_hi_u32 v9, v2, 24
	v_mul_lo_u32 v2, v2, 24
	v_add_nc_u32_e32 v3, v9, v3
	s_waitcnt vmcnt(0)
	v_add_co_u32 v4, vcc_lo, v4, v2
	v_mov_b32_e32 v2, v7
	v_add_co_ci_u32_e32 v5, vcc_lo, v5, v3, vcc_lo
	v_mov_b32_e32 v3, v8
	global_store_dwordx2 v[4:5], v[7:8], off
	s_waitcnt_vscnt null, 0x0
	global_atomic_cmpswap_x2 v[2:3], v6, v[0:3], s[26:27] offset:24 glc
	s_waitcnt vmcnt(0)
	v_cmp_ne_u64_e32 vcc_lo, v[2:3], v[7:8]
	s_and_b32 exec_lo, exec_lo, vcc_lo
	s_cbranch_execz .LBB3_1520
; %bb.1518:
	s_mov_b32 s4, 0
.LBB3_1519:                             ; =>This Inner Loop Header: Depth=1
	s_sleep 1
	global_store_dwordx2 v[4:5], v[2:3], off
	s_waitcnt_vscnt null, 0x0
	global_atomic_cmpswap_x2 v[7:8], v6, v[0:3], s[26:27] offset:24 glc
	s_waitcnt vmcnt(0)
	v_cmp_eq_u64_e32 vcc_lo, v[7:8], v[2:3]
	v_mov_b32_e32 v2, v7
	v_mov_b32_e32 v3, v8
	s_or_b32 s4, vcc_lo, s4
	s_andn2_b32 exec_lo, exec_lo, s4
	s_cbranch_execnz .LBB3_1519
.LBB3_1520:
	s_or_b32 exec_lo, exec_lo, s5
.LBB3_1521:
	s_add_u32 s24, s6, 16
	s_addc_u32 s25, s7, 0
	s_getpc_b64 s[4:5]
	s_add_u32 s4, s4, .str.17@rel32@lo+4
	s_addc_u32 s5, s5, .str.17@rel32@hi+12
	s_waitcnt vmcnt(0)
	v_mov_b32_e32 v0, s4
	v_mov_b32_e32 v1, s5
	s_mov_b64 s[8:9], s[24:25]
	s_mov_b64 s[28:29], s[6:7]
	s_getpc_b64 s[40:41]
	s_add_u32 s40, s40, _ZNK8migraphx13basic_printerIZNS_4coutEvEUlT_E_ElsEPKc@rel32@lo+4
	s_addc_u32 s41, s41, _ZNK8migraphx13basic_printerIZNS_4coutEvEUlT_E_ElsEPKc@rel32@hi+12
	s_swappc_b64 s[30:31], s[40:41]
	s_getpc_b64 s[4:5]
	s_add_u32 s4, s4, .str.3@rel32@lo+4
	s_addc_u32 s5, s5, .str.3@rel32@hi+12
	v_mov_b32_e32 v0, s4
	v_mov_b32_e32 v1, s5
	s_mov_b64 s[8:9], s[24:25]
	s_swappc_b64 s[30:31], s[40:41]
	v_cndmask_b32_e64 v0, 0, 1, s22
	s_mov_b64 s[8:9], s[24:25]
	s_getpc_b64 s[4:5]
	s_add_u32 s4, s4, _ZN8migraphx4testlsIKNS_13basic_printerIZNS_4coutEvEUlT_E_EEEERS3_S7_RKNS0_14lhs_expressionIbNS0_3nopEEE@rel32@lo+4
	s_addc_u32 s5, s5, _ZN8migraphx4testlsIKNS_13basic_printerIZNS_4coutEvEUlT_E_EEEERS3_S7_RKNS0_14lhs_expressionIbNS0_3nopEEE@rel32@hi+12
	s_swappc_b64 s[30:31], s[4:5]
	s_getpc_b64 s[4:5]
	s_add_u32 s4, s4, .str.4@rel32@lo+4
	s_addc_u32 s5, s5, .str.4@rel32@hi+12
	v_mov_b32_e32 v0, s4
	v_mov_b32_e32 v1, s5
	s_mov_b64 s[8:9], s[24:25]
	s_swappc_b64 s[30:31], s[40:41]
	v_readfirstlane_b32 s4, v37
	v_mov_b32_e32 v6, 0
	v_mov_b32_e32 v7, 0
	v_cmp_eq_u32_e64 s4, s4, v37
	s_and_saveexec_b32 s5, s4
	s_mov_b32 s12, s38
	s_mov_b32 s11, s37
	;; [unrolled: 1-line block ×3, first 2 shown]
	s_cbranch_execz .LBB3_1527
; %bb.1522:
	v_mov_b32_e32 v0, 0
	s_mov_b32 s6, exec_lo
	global_load_dwordx2 v[3:4], v0, s[26:27] offset:24 glc dlc
	s_waitcnt vmcnt(0)
	buffer_gl1_inv
	buffer_gl0_inv
	s_clause 0x1
	global_load_dwordx2 v[1:2], v0, s[26:27] offset:40
	global_load_dwordx2 v[5:6], v0, s[26:27]
	s_waitcnt vmcnt(1)
	v_and_b32_e32 v2, v2, v4
	v_and_b32_e32 v1, v1, v3
	v_mul_lo_u32 v2, v2, 24
	v_mul_hi_u32 v7, v1, 24
	v_mul_lo_u32 v1, v1, 24
	v_add_nc_u32_e32 v2, v7, v2
	s_waitcnt vmcnt(0)
	v_add_co_u32 v1, vcc_lo, v5, v1
	v_add_co_ci_u32_e32 v2, vcc_lo, v6, v2, vcc_lo
	global_load_dwordx2 v[1:2], v[1:2], off glc dlc
	s_waitcnt vmcnt(0)
	global_atomic_cmpswap_x2 v[6:7], v0, v[1:4], s[26:27] offset:24 glc
	s_waitcnt vmcnt(0)
	buffer_gl1_inv
	buffer_gl0_inv
	v_cmpx_ne_u64_e64 v[6:7], v[3:4]
	s_cbranch_execz .LBB3_1526
; %bb.1523:
	s_mov_b32 s7, 0
	.p2align	6
.LBB3_1524:                             ; =>This Inner Loop Header: Depth=1
	s_sleep 1
	s_clause 0x1
	global_load_dwordx2 v[1:2], v0, s[26:27] offset:40
	global_load_dwordx2 v[8:9], v0, s[26:27]
	v_mov_b32_e32 v3, v6
	v_mov_b32_e32 v4, v7
	s_waitcnt vmcnt(1)
	v_and_b32_e32 v1, v1, v3
	v_and_b32_e32 v2, v2, v4
	s_waitcnt vmcnt(0)
	v_mad_u64_u32 v[5:6], null, v1, 24, v[8:9]
	v_mov_b32_e32 v1, v6
	v_mad_u64_u32 v[1:2], null, v2, 24, v[1:2]
	v_mov_b32_e32 v6, v1
	global_load_dwordx2 v[1:2], v[5:6], off glc dlc
	s_waitcnt vmcnt(0)
	global_atomic_cmpswap_x2 v[6:7], v0, v[1:4], s[26:27] offset:24 glc
	s_waitcnt vmcnt(0)
	buffer_gl1_inv
	buffer_gl0_inv
	v_cmp_eq_u64_e32 vcc_lo, v[6:7], v[3:4]
	s_or_b32 s7, vcc_lo, s7
	s_andn2_b32 exec_lo, exec_lo, s7
	s_cbranch_execnz .LBB3_1524
; %bb.1525:
	s_or_b32 exec_lo, exec_lo, s7
.LBB3_1526:
	s_or_b32 exec_lo, exec_lo, s6
.LBB3_1527:
	s_or_b32 exec_lo, exec_lo, s5
	v_mov_b32_e32 v5, 0
	v_readfirstlane_b32 s8, v6
	v_readfirstlane_b32 s9, v7
	s_mov_b32 s5, exec_lo
	s_clause 0x1
	global_load_dwordx2 v[8:9], v5, s[26:27] offset:40
	global_load_dwordx4 v[0:3], v5, s[26:27]
	s_waitcnt vmcnt(1)
	v_readfirstlane_b32 s6, v8
	v_readfirstlane_b32 s7, v9
	s_and_b64 s[6:7], s[8:9], s[6:7]
	s_mul_i32 s13, s7, 24
	s_mul_hi_u32 s14, s6, 24
	s_mul_i32 s15, s6, 24
	s_add_i32 s14, s14, s13
	s_waitcnt vmcnt(0)
	v_add_co_u32 v8, vcc_lo, v0, s15
	v_add_co_ci_u32_e32 v9, vcc_lo, s14, v1, vcc_lo
	s_and_saveexec_b32 s13, s4
	s_cbranch_execz .LBB3_1529
; %bb.1528:
	v_mov_b32_e32 v4, s5
	v_mov_b32_e32 v6, 2
	v_mov_b32_e32 v7, 1
	global_store_dwordx4 v[8:9], v[4:7], off offset:8
.LBB3_1529:
	s_or_b32 exec_lo, exec_lo, s13
	s_lshl_b64 s[6:7], s[6:7], 12
	s_mov_b32 s16, 0
	v_add_co_u32 v2, vcc_lo, v2, s6
	v_add_co_ci_u32_e32 v3, vcc_lo, s7, v3, vcc_lo
	s_mov_b32 s17, s16
	v_add_co_u32 v10, vcc_lo, v2, v36
	s_mov_b32 s18, s16
	s_mov_b32 s19, s16
	v_mov_b32_e32 v4, 33
	v_mov_b32_e32 v6, v5
	;; [unrolled: 1-line block ×3, first 2 shown]
	v_readfirstlane_b32 s6, v2
	v_readfirstlane_b32 s7, v3
	v_mov_b32_e32 v12, s16
	v_add_co_ci_u32_e32 v11, vcc_lo, 0, v3, vcc_lo
	v_mov_b32_e32 v13, s17
	v_mov_b32_e32 v14, s18
	;; [unrolled: 1-line block ×3, first 2 shown]
	global_store_dwordx4 v36, v[4:7], s[6:7]
	global_store_dwordx4 v36, v[12:15], s[6:7] offset:16
	global_store_dwordx4 v36, v[12:15], s[6:7] offset:32
	;; [unrolled: 1-line block ×3, first 2 shown]
	s_and_saveexec_b32 s5, s4
	s_mov_b64 s[6:7], s[28:29]
	s_cbranch_execz .LBB3_1537
; %bb.1530:
	v_mov_b32_e32 v6, 0
	v_mov_b32_e32 v12, s8
	;; [unrolled: 1-line block ×3, first 2 shown]
	s_clause 0x1
	global_load_dwordx2 v[14:15], v6, s[26:27] offset:32 glc dlc
	global_load_dwordx2 v[2:3], v6, s[26:27] offset:40
	s_waitcnt vmcnt(0)
	v_readfirstlane_b32 s14, v2
	v_readfirstlane_b32 s15, v3
	s_and_b64 s[14:15], s[14:15], s[8:9]
	s_mul_i32 s13, s15, 24
	s_mul_hi_u32 s15, s14, 24
	s_mul_i32 s14, s14, 24
	s_add_i32 s15, s15, s13
	v_add_co_u32 v4, vcc_lo, v0, s14
	v_add_co_ci_u32_e32 v5, vcc_lo, s15, v1, vcc_lo
	s_mov_b32 s13, exec_lo
	global_store_dwordx2 v[4:5], v[14:15], off
	s_waitcnt_vscnt null, 0x0
	global_atomic_cmpswap_x2 v[2:3], v6, v[12:15], s[26:27] offset:32 glc
	s_waitcnt vmcnt(0)
	v_cmpx_ne_u64_e64 v[2:3], v[14:15]
	s_cbranch_execz .LBB3_1533
; %bb.1531:
	s_mov_b32 s14, 0
.LBB3_1532:                             ; =>This Inner Loop Header: Depth=1
	v_mov_b32_e32 v0, s8
	v_mov_b32_e32 v1, s9
	s_sleep 1
	global_store_dwordx2 v[4:5], v[2:3], off
	s_waitcnt_vscnt null, 0x0
	global_atomic_cmpswap_x2 v[0:1], v6, v[0:3], s[26:27] offset:32 glc
	s_waitcnt vmcnt(0)
	v_cmp_eq_u64_e32 vcc_lo, v[0:1], v[2:3]
	v_mov_b32_e32 v3, v1
	v_mov_b32_e32 v2, v0
	s_or_b32 s14, vcc_lo, s14
	s_andn2_b32 exec_lo, exec_lo, s14
	s_cbranch_execnz .LBB3_1532
.LBB3_1533:
	s_or_b32 exec_lo, exec_lo, s13
	v_mov_b32_e32 v3, 0
	s_mov_b32 s14, exec_lo
	s_mov_b32 s13, exec_lo
	v_mbcnt_lo_u32_b32 v2, s14, 0
	global_load_dwordx2 v[0:1], v3, s[26:27] offset:16
	v_cmpx_eq_u32_e32 0, v2
	s_cbranch_execz .LBB3_1535
; %bb.1534:
	s_bcnt1_i32_b32 s14, s14
	v_mov_b32_e32 v2, s14
	s_waitcnt vmcnt(0)
	global_atomic_add_x2 v[0:1], v[2:3], off offset:8
.LBB3_1535:
	s_or_b32 exec_lo, exec_lo, s13
	s_waitcnt vmcnt(0)
	global_load_dwordx2 v[2:3], v[0:1], off offset:16
	s_waitcnt vmcnt(0)
	v_cmp_eq_u64_e32 vcc_lo, 0, v[2:3]
	s_cbranch_vccnz .LBB3_1537
; %bb.1536:
	global_load_dword v0, v[0:1], off offset:24
	v_mov_b32_e32 v1, 0
	s_waitcnt vmcnt(0)
	v_and_b32_e32 v4, 0x7fffff, v0
	s_waitcnt_vscnt null, 0x0
	global_store_dwordx2 v[2:3], v[0:1], off
	v_readfirstlane_b32 m0, v4
	s_sendmsg sendmsg(MSG_INTERRUPT)
.LBB3_1537:
	s_or_b32 exec_lo, exec_lo, s5
	s_branch .LBB3_1541
	.p2align	6
.LBB3_1538:                             ;   in Loop: Header=BB3_1541 Depth=1
	s_or_b32 exec_lo, exec_lo, s5
	v_readfirstlane_b32 s5, v0
	s_cmp_eq_u32 s5, 0
	s_cbranch_scc1 .LBB3_1540
; %bb.1539:                             ;   in Loop: Header=BB3_1541 Depth=1
	s_sleep 1
	s_cbranch_execnz .LBB3_1541
	s_branch .LBB3_1543
	.p2align	6
.LBB3_1540:
	s_branch .LBB3_1543
.LBB3_1541:                             ; =>This Inner Loop Header: Depth=1
	v_mov_b32_e32 v0, 1
	s_and_saveexec_b32 s5, s4
	s_cbranch_execz .LBB3_1538
; %bb.1542:                             ;   in Loop: Header=BB3_1541 Depth=1
	global_load_dword v0, v[8:9], off offset:20 glc dlc
	s_waitcnt vmcnt(0)
	buffer_gl1_inv
	buffer_gl0_inv
	v_and_b32_e32 v0, 1, v0
	s_branch .LBB3_1538
.LBB3_1543:
	global_load_dwordx2 v[0:1], v[10:11], off
	s_and_saveexec_b32 s5, s4
	s_cbranch_execz .LBB3_1547
; %bb.1544:
	v_mov_b32_e32 v8, 0
	s_clause 0x2
	global_load_dwordx2 v[4:5], v8, s[26:27] offset:40
	global_load_dwordx2 v[9:10], v8, s[26:27] offset:24 glc dlc
	global_load_dwordx2 v[6:7], v8, s[26:27]
	s_waitcnt vmcnt(2)
	v_add_co_u32 v11, vcc_lo, v4, 1
	v_add_co_ci_u32_e32 v12, vcc_lo, 0, v5, vcc_lo
	v_add_co_u32 v2, vcc_lo, v11, s8
	v_add_co_ci_u32_e32 v3, vcc_lo, s9, v12, vcc_lo
	v_cmp_eq_u64_e32 vcc_lo, 0, v[2:3]
	v_cndmask_b32_e32 v3, v3, v12, vcc_lo
	v_cndmask_b32_e32 v2, v2, v11, vcc_lo
	v_and_b32_e32 v5, v3, v5
	v_and_b32_e32 v4, v2, v4
	v_mul_lo_u32 v5, v5, 24
	v_mul_hi_u32 v11, v4, 24
	v_mul_lo_u32 v4, v4, 24
	v_add_nc_u32_e32 v5, v11, v5
	s_waitcnt vmcnt(0)
	v_add_co_u32 v6, vcc_lo, v6, v4
	v_mov_b32_e32 v4, v9
	v_add_co_ci_u32_e32 v7, vcc_lo, v7, v5, vcc_lo
	v_mov_b32_e32 v5, v10
	global_store_dwordx2 v[6:7], v[9:10], off
	s_waitcnt_vscnt null, 0x0
	global_atomic_cmpswap_x2 v[4:5], v8, v[2:5], s[26:27] offset:24 glc
	s_waitcnt vmcnt(0)
	v_cmp_ne_u64_e32 vcc_lo, v[4:5], v[9:10]
	s_and_b32 exec_lo, exec_lo, vcc_lo
	s_cbranch_execz .LBB3_1547
; %bb.1545:
	s_mov_b32 s4, 0
.LBB3_1546:                             ; =>This Inner Loop Header: Depth=1
	s_sleep 1
	global_store_dwordx2 v[6:7], v[4:5], off
	s_waitcnt_vscnt null, 0x0
	global_atomic_cmpswap_x2 v[9:10], v8, v[2:5], s[26:27] offset:24 glc
	s_waitcnt vmcnt(0)
	v_cmp_eq_u64_e32 vcc_lo, v[9:10], v[4:5]
	v_mov_b32_e32 v4, v9
	v_mov_b32_e32 v5, v10
	s_or_b32 s4, vcc_lo, s4
	s_andn2_b32 exec_lo, exec_lo, s4
	s_cbranch_execnz .LBB3_1546
.LBB3_1547:
	s_or_b32 exec_lo, exec_lo, s5
	s_and_b32 vcc_lo, exec_lo, s35
	s_cbranch_vccz .LBB3_1626
; %bb.1548:
	s_waitcnt vmcnt(0)
	v_and_b32_e32 v31, 2, v0
	v_mov_b32_e32 v6, 0
	v_and_b32_e32 v2, -3, v0
	v_mov_b32_e32 v3, v1
	v_mov_b32_e32 v7, 2
	;; [unrolled: 1-line block ×3, first 2 shown]
	s_mov_b64 s[14:15], 3
	s_getpc_b64 s[8:9]
	s_add_u32 s8, s8, .str.6@rel32@lo+4
	s_addc_u32 s9, s9, .str.6@rel32@hi+12
	s_branch .LBB3_1550
.LBB3_1549:                             ;   in Loop: Header=BB3_1550 Depth=1
	s_or_b32 exec_lo, exec_lo, s5
	s_sub_u32 s14, s14, s16
	s_subb_u32 s15, s15, s17
	s_add_u32 s8, s8, s16
	s_addc_u32 s9, s9, s17
	s_cmp_lg_u64 s[14:15], 0
	s_cbranch_scc0 .LBB3_1625
.LBB3_1550:                             ; =>This Loop Header: Depth=1
                                        ;     Child Loop BB3_1559 Depth 2
                                        ;     Child Loop BB3_1555 Depth 2
	;; [unrolled: 1-line block ×11, first 2 shown]
	v_cmp_lt_u64_e64 s4, s[14:15], 56
	v_cmp_gt_u64_e64 s5, s[14:15], 7
                                        ; implicit-def: $vgpr11_vgpr12
                                        ; implicit-def: $sgpr13
	s_and_b32 s4, s4, exec_lo
	s_cselect_b32 s17, s15, 0
	s_cselect_b32 s16, s14, 56
	s_and_b32 vcc_lo, exec_lo, s5
	s_mov_b32 s4, -1
	s_cbranch_vccz .LBB3_1557
; %bb.1551:                             ;   in Loop: Header=BB3_1550 Depth=1
	s_andn2_b32 vcc_lo, exec_lo, s4
	s_mov_b64 s[4:5], s[8:9]
	s_cbranch_vccz .LBB3_1561
.LBB3_1552:                             ;   in Loop: Header=BB3_1550 Depth=1
	s_cmp_gt_u32 s13, 7
	s_cbranch_scc1 .LBB3_1562
.LBB3_1553:                             ;   in Loop: Header=BB3_1550 Depth=1
	v_mov_b32_e32 v13, 0
	v_mov_b32_e32 v14, 0
	s_cmp_eq_u32 s13, 0
	s_cbranch_scc1 .LBB3_1556
; %bb.1554:                             ;   in Loop: Header=BB3_1550 Depth=1
	s_mov_b64 s[18:19], 0
	s_mov_b64 s[20:21], 0
.LBB3_1555:                             ;   Parent Loop BB3_1550 Depth=1
                                        ; =>  This Inner Loop Header: Depth=2
	s_add_u32 s22, s4, s20
	s_addc_u32 s23, s5, s21
	s_add_u32 s20, s20, 1
	global_load_ubyte v4, v6, s[22:23]
	s_addc_u32 s21, s21, 0
	s_waitcnt vmcnt(0)
	v_and_b32_e32 v5, 0xffff, v4
	v_lshlrev_b64 v[4:5], s18, v[5:6]
	s_add_u32 s18, s18, 8
	s_addc_u32 s19, s19, 0
	s_cmp_lg_u32 s13, s20
	v_or_b32_e32 v13, v4, v13
	v_or_b32_e32 v14, v5, v14
	s_cbranch_scc1 .LBB3_1555
.LBB3_1556:                             ;   in Loop: Header=BB3_1550 Depth=1
	s_mov_b32 s22, 0
	s_cbranch_execz .LBB3_1563
	s_branch .LBB3_1564
.LBB3_1557:                             ;   in Loop: Header=BB3_1550 Depth=1
	v_mov_b32_e32 v11, 0
	v_mov_b32_e32 v12, 0
	s_cmp_eq_u64 s[14:15], 0
	s_mov_b64 s[4:5], 0
	s_cbranch_scc1 .LBB3_1560
; %bb.1558:                             ;   in Loop: Header=BB3_1550 Depth=1
	v_mov_b32_e32 v11, 0
	v_mov_b32_e32 v12, 0
	s_lshl_b64 s[18:19], s[16:17], 3
	s_mov_b64 s[20:21], s[8:9]
.LBB3_1559:                             ;   Parent Loop BB3_1550 Depth=1
                                        ; =>  This Inner Loop Header: Depth=2
	global_load_ubyte v4, v6, s[20:21]
	s_waitcnt vmcnt(0)
	v_and_b32_e32 v5, 0xffff, v4
	v_lshlrev_b64 v[4:5], s4, v[5:6]
	s_add_u32 s4, s4, 8
	s_addc_u32 s5, s5, 0
	s_add_u32 s20, s20, 1
	s_addc_u32 s21, s21, 0
	s_cmp_lg_u32 s18, s4
	v_or_b32_e32 v11, v4, v11
	v_or_b32_e32 v12, v5, v12
	s_cbranch_scc1 .LBB3_1559
.LBB3_1560:                             ;   in Loop: Header=BB3_1550 Depth=1
	s_mov_b32 s13, 0
	s_mov_b64 s[4:5], s[8:9]
	s_cbranch_execnz .LBB3_1552
.LBB3_1561:                             ;   in Loop: Header=BB3_1550 Depth=1
	global_load_dwordx2 v[11:12], v6, s[8:9]
	s_add_i32 s13, s16, -8
	s_add_u32 s4, s8, 8
	s_addc_u32 s5, s9, 0
	s_cmp_gt_u32 s13, 7
	s_cbranch_scc0 .LBB3_1553
.LBB3_1562:                             ;   in Loop: Header=BB3_1550 Depth=1
                                        ; implicit-def: $vgpr13_vgpr14
                                        ; implicit-def: $sgpr22
.LBB3_1563:                             ;   in Loop: Header=BB3_1550 Depth=1
	global_load_dwordx2 v[13:14], v6, s[4:5]
	s_add_i32 s22, s13, -8
	s_add_u32 s4, s4, 8
	s_addc_u32 s5, s5, 0
.LBB3_1564:                             ;   in Loop: Header=BB3_1550 Depth=1
	s_cmp_gt_u32 s22, 7
	s_cbranch_scc1 .LBB3_1569
; %bb.1565:                             ;   in Loop: Header=BB3_1550 Depth=1
	v_mov_b32_e32 v15, 0
	v_mov_b32_e32 v16, 0
	s_cmp_eq_u32 s22, 0
	s_cbranch_scc1 .LBB3_1568
; %bb.1566:                             ;   in Loop: Header=BB3_1550 Depth=1
	s_mov_b64 s[18:19], 0
	s_mov_b64 s[20:21], 0
.LBB3_1567:                             ;   Parent Loop BB3_1550 Depth=1
                                        ; =>  This Inner Loop Header: Depth=2
	s_add_u32 s24, s4, s20
	s_addc_u32 s25, s5, s21
	s_add_u32 s20, s20, 1
	global_load_ubyte v4, v6, s[24:25]
	s_addc_u32 s21, s21, 0
	s_waitcnt vmcnt(0)
	v_and_b32_e32 v5, 0xffff, v4
	v_lshlrev_b64 v[4:5], s18, v[5:6]
	s_add_u32 s18, s18, 8
	s_addc_u32 s19, s19, 0
	s_cmp_lg_u32 s22, s20
	v_or_b32_e32 v15, v4, v15
	v_or_b32_e32 v16, v5, v16
	s_cbranch_scc1 .LBB3_1567
.LBB3_1568:                             ;   in Loop: Header=BB3_1550 Depth=1
	s_mov_b32 s13, 0
	s_cbranch_execz .LBB3_1570
	s_branch .LBB3_1571
.LBB3_1569:                             ;   in Loop: Header=BB3_1550 Depth=1
                                        ; implicit-def: $sgpr13
.LBB3_1570:                             ;   in Loop: Header=BB3_1550 Depth=1
	global_load_dwordx2 v[15:16], v6, s[4:5]
	s_add_i32 s13, s22, -8
	s_add_u32 s4, s4, 8
	s_addc_u32 s5, s5, 0
.LBB3_1571:                             ;   in Loop: Header=BB3_1550 Depth=1
	s_cmp_gt_u32 s13, 7
	s_cbranch_scc1 .LBB3_1576
; %bb.1572:                             ;   in Loop: Header=BB3_1550 Depth=1
	v_mov_b32_e32 v17, 0
	v_mov_b32_e32 v18, 0
	s_cmp_eq_u32 s13, 0
	s_cbranch_scc1 .LBB3_1575
; %bb.1573:                             ;   in Loop: Header=BB3_1550 Depth=1
	s_mov_b64 s[18:19], 0
	s_mov_b64 s[20:21], 0
.LBB3_1574:                             ;   Parent Loop BB3_1550 Depth=1
                                        ; =>  This Inner Loop Header: Depth=2
	s_add_u32 s22, s4, s20
	s_addc_u32 s23, s5, s21
	s_add_u32 s20, s20, 1
	global_load_ubyte v4, v6, s[22:23]
	s_addc_u32 s21, s21, 0
	s_waitcnt vmcnt(0)
	v_and_b32_e32 v5, 0xffff, v4
	v_lshlrev_b64 v[4:5], s18, v[5:6]
	s_add_u32 s18, s18, 8
	s_addc_u32 s19, s19, 0
	s_cmp_lg_u32 s13, s20
	v_or_b32_e32 v17, v4, v17
	v_or_b32_e32 v18, v5, v18
	s_cbranch_scc1 .LBB3_1574
.LBB3_1575:                             ;   in Loop: Header=BB3_1550 Depth=1
	s_mov_b32 s22, 0
	s_cbranch_execz .LBB3_1577
	s_branch .LBB3_1578
.LBB3_1576:                             ;   in Loop: Header=BB3_1550 Depth=1
                                        ; implicit-def: $vgpr17_vgpr18
                                        ; implicit-def: $sgpr22
.LBB3_1577:                             ;   in Loop: Header=BB3_1550 Depth=1
	global_load_dwordx2 v[17:18], v6, s[4:5]
	s_add_i32 s22, s13, -8
	s_add_u32 s4, s4, 8
	s_addc_u32 s5, s5, 0
.LBB3_1578:                             ;   in Loop: Header=BB3_1550 Depth=1
	s_cmp_gt_u32 s22, 7
	s_cbranch_scc1 .LBB3_1583
; %bb.1579:                             ;   in Loop: Header=BB3_1550 Depth=1
	v_mov_b32_e32 v19, 0
	v_mov_b32_e32 v20, 0
	s_cmp_eq_u32 s22, 0
	s_cbranch_scc1 .LBB3_1582
; %bb.1580:                             ;   in Loop: Header=BB3_1550 Depth=1
	s_mov_b64 s[18:19], 0
	s_mov_b64 s[20:21], 0
.LBB3_1581:                             ;   Parent Loop BB3_1550 Depth=1
                                        ; =>  This Inner Loop Header: Depth=2
	s_add_u32 s24, s4, s20
	s_addc_u32 s25, s5, s21
	s_add_u32 s20, s20, 1
	global_load_ubyte v4, v6, s[24:25]
	s_addc_u32 s21, s21, 0
	s_waitcnt vmcnt(0)
	v_and_b32_e32 v5, 0xffff, v4
	v_lshlrev_b64 v[4:5], s18, v[5:6]
	s_add_u32 s18, s18, 8
	s_addc_u32 s19, s19, 0
	s_cmp_lg_u32 s22, s20
	v_or_b32_e32 v19, v4, v19
	v_or_b32_e32 v20, v5, v20
	s_cbranch_scc1 .LBB3_1581
.LBB3_1582:                             ;   in Loop: Header=BB3_1550 Depth=1
	s_mov_b32 s13, 0
	s_cbranch_execz .LBB3_1584
	s_branch .LBB3_1585
.LBB3_1583:                             ;   in Loop: Header=BB3_1550 Depth=1
                                        ; implicit-def: $sgpr13
.LBB3_1584:                             ;   in Loop: Header=BB3_1550 Depth=1
	global_load_dwordx2 v[19:20], v6, s[4:5]
	s_add_i32 s13, s22, -8
	s_add_u32 s4, s4, 8
	s_addc_u32 s5, s5, 0
.LBB3_1585:                             ;   in Loop: Header=BB3_1550 Depth=1
	s_cmp_gt_u32 s13, 7
	s_cbranch_scc1 .LBB3_1590
; %bb.1586:                             ;   in Loop: Header=BB3_1550 Depth=1
	v_mov_b32_e32 v21, 0
	v_mov_b32_e32 v22, 0
	s_cmp_eq_u32 s13, 0
	s_cbranch_scc1 .LBB3_1589
; %bb.1587:                             ;   in Loop: Header=BB3_1550 Depth=1
	s_mov_b64 s[18:19], 0
	s_mov_b64 s[20:21], 0
.LBB3_1588:                             ;   Parent Loop BB3_1550 Depth=1
                                        ; =>  This Inner Loop Header: Depth=2
	s_add_u32 s22, s4, s20
	s_addc_u32 s23, s5, s21
	s_add_u32 s20, s20, 1
	global_load_ubyte v4, v6, s[22:23]
	s_addc_u32 s21, s21, 0
	s_waitcnt vmcnt(0)
	v_and_b32_e32 v5, 0xffff, v4
	v_lshlrev_b64 v[4:5], s18, v[5:6]
	s_add_u32 s18, s18, 8
	s_addc_u32 s19, s19, 0
	s_cmp_lg_u32 s13, s20
	v_or_b32_e32 v21, v4, v21
	v_or_b32_e32 v22, v5, v22
	s_cbranch_scc1 .LBB3_1588
.LBB3_1589:                             ;   in Loop: Header=BB3_1550 Depth=1
	s_mov_b32 s22, 0
	s_cbranch_execz .LBB3_1591
	s_branch .LBB3_1592
.LBB3_1590:                             ;   in Loop: Header=BB3_1550 Depth=1
                                        ; implicit-def: $vgpr21_vgpr22
                                        ; implicit-def: $sgpr22
.LBB3_1591:                             ;   in Loop: Header=BB3_1550 Depth=1
	global_load_dwordx2 v[21:22], v6, s[4:5]
	s_add_i32 s22, s13, -8
	s_add_u32 s4, s4, 8
	s_addc_u32 s5, s5, 0
.LBB3_1592:                             ;   in Loop: Header=BB3_1550 Depth=1
	s_cmp_gt_u32 s22, 7
	s_cbranch_scc1 .LBB3_1597
; %bb.1593:                             ;   in Loop: Header=BB3_1550 Depth=1
	v_mov_b32_e32 v23, 0
	v_mov_b32_e32 v24, 0
	s_cmp_eq_u32 s22, 0
	s_cbranch_scc1 .LBB3_1596
; %bb.1594:                             ;   in Loop: Header=BB3_1550 Depth=1
	s_mov_b64 s[18:19], 0
	s_mov_b64 s[20:21], s[4:5]
.LBB3_1595:                             ;   Parent Loop BB3_1550 Depth=1
                                        ; =>  This Inner Loop Header: Depth=2
	global_load_ubyte v4, v6, s[20:21]
	s_add_i32 s22, s22, -1
	s_waitcnt vmcnt(0)
	v_and_b32_e32 v5, 0xffff, v4
	v_lshlrev_b64 v[4:5], s18, v[5:6]
	s_add_u32 s18, s18, 8
	s_addc_u32 s19, s19, 0
	s_add_u32 s20, s20, 1
	s_addc_u32 s21, s21, 0
	s_cmp_lg_u32 s22, 0
	v_or_b32_e32 v23, v4, v23
	v_or_b32_e32 v24, v5, v24
	s_cbranch_scc1 .LBB3_1595
.LBB3_1596:                             ;   in Loop: Header=BB3_1550 Depth=1
	s_cbranch_execz .LBB3_1598
	s_branch .LBB3_1599
.LBB3_1597:                             ;   in Loop: Header=BB3_1550 Depth=1
.LBB3_1598:                             ;   in Loop: Header=BB3_1550 Depth=1
	global_load_dwordx2 v[23:24], v6, s[4:5]
.LBB3_1599:                             ;   in Loop: Header=BB3_1550 Depth=1
	v_readfirstlane_b32 s4, v37
	s_waitcnt vmcnt(0)
	v_mov_b32_e32 v4, 0
	v_mov_b32_e32 v5, 0
	v_cmp_eq_u32_e64 s4, s4, v37
	s_and_saveexec_b32 s5, s4
	s_cbranch_execz .LBB3_1605
; %bb.1600:                             ;   in Loop: Header=BB3_1550 Depth=1
	global_load_dwordx2 v[27:28], v6, s[26:27] offset:24 glc dlc
	s_waitcnt vmcnt(0)
	buffer_gl1_inv
	buffer_gl0_inv
	s_clause 0x1
	global_load_dwordx2 v[4:5], v6, s[26:27] offset:40
	global_load_dwordx2 v[9:10], v6, s[26:27]
	s_mov_b32 s13, exec_lo
	s_waitcnt vmcnt(1)
	v_and_b32_e32 v5, v5, v28
	v_and_b32_e32 v4, v4, v27
	v_mul_lo_u32 v5, v5, 24
	v_mul_hi_u32 v25, v4, 24
	v_mul_lo_u32 v4, v4, 24
	v_add_nc_u32_e32 v5, v25, v5
	s_waitcnt vmcnt(0)
	v_add_co_u32 v4, vcc_lo, v9, v4
	v_add_co_ci_u32_e32 v5, vcc_lo, v10, v5, vcc_lo
	global_load_dwordx2 v[25:26], v[4:5], off glc dlc
	s_waitcnt vmcnt(0)
	global_atomic_cmpswap_x2 v[4:5], v6, v[25:28], s[26:27] offset:24 glc
	s_waitcnt vmcnt(0)
	buffer_gl1_inv
	buffer_gl0_inv
	v_cmpx_ne_u64_e64 v[4:5], v[27:28]
	s_cbranch_execz .LBB3_1604
; %bb.1601:                             ;   in Loop: Header=BB3_1550 Depth=1
	s_mov_b32 s18, 0
	.p2align	6
.LBB3_1602:                             ;   Parent Loop BB3_1550 Depth=1
                                        ; =>  This Inner Loop Header: Depth=2
	s_sleep 1
	s_clause 0x1
	global_load_dwordx2 v[9:10], v6, s[26:27] offset:40
	global_load_dwordx2 v[25:26], v6, s[26:27]
	v_mov_b32_e32 v28, v5
	v_mov_b32_e32 v27, v4
	s_waitcnt vmcnt(1)
	v_and_b32_e32 v4, v9, v27
	v_and_b32_e32 v9, v10, v28
	s_waitcnt vmcnt(0)
	v_mad_u64_u32 v[4:5], null, v4, 24, v[25:26]
	v_mad_u64_u32 v[9:10], null, v9, 24, v[5:6]
	v_mov_b32_e32 v5, v9
	global_load_dwordx2 v[25:26], v[4:5], off glc dlc
	s_waitcnt vmcnt(0)
	global_atomic_cmpswap_x2 v[4:5], v6, v[25:28], s[26:27] offset:24 glc
	s_waitcnt vmcnt(0)
	buffer_gl1_inv
	buffer_gl0_inv
	v_cmp_eq_u64_e32 vcc_lo, v[4:5], v[27:28]
	s_or_b32 s18, vcc_lo, s18
	s_andn2_b32 exec_lo, exec_lo, s18
	s_cbranch_execnz .LBB3_1602
; %bb.1603:                             ;   in Loop: Header=BB3_1550 Depth=1
	s_or_b32 exec_lo, exec_lo, s18
.LBB3_1604:                             ;   in Loop: Header=BB3_1550 Depth=1
	s_or_b32 exec_lo, exec_lo, s13
.LBB3_1605:                             ;   in Loop: Header=BB3_1550 Depth=1
	s_or_b32 exec_lo, exec_lo, s5
	s_clause 0x1
	global_load_dwordx2 v[9:10], v6, s[26:27] offset:40
	global_load_dwordx4 v[25:28], v6, s[26:27]
	v_readfirstlane_b32 s18, v4
	v_readfirstlane_b32 s19, v5
	s_mov_b32 s5, exec_lo
	s_waitcnt vmcnt(1)
	v_readfirstlane_b32 s20, v9
	v_readfirstlane_b32 s21, v10
	s_and_b64 s[20:21], s[18:19], s[20:21]
	s_mul_i32 s13, s21, 24
	s_mul_hi_u32 s22, s20, 24
	s_mul_i32 s23, s20, 24
	s_add_i32 s22, s22, s13
	s_waitcnt vmcnt(0)
	v_add_co_u32 v29, vcc_lo, v25, s23
	v_add_co_ci_u32_e32 v30, vcc_lo, s22, v26, vcc_lo
	s_and_saveexec_b32 s13, s4
	s_cbranch_execz .LBB3_1607
; %bb.1606:                             ;   in Loop: Header=BB3_1550 Depth=1
	v_mov_b32_e32 v5, s5
	global_store_dwordx4 v[29:30], v[5:8], off offset:8
.LBB3_1607:                             ;   in Loop: Header=BB3_1550 Depth=1
	s_or_b32 exec_lo, exec_lo, s13
	s_lshl_b64 s[20:21], s[20:21], 12
	v_cmp_gt_u64_e64 vcc_lo, s[14:15], 56
	v_or_b32_e32 v5, v2, v31
	v_add_co_u32 v27, s5, v27, s20
	v_add_co_ci_u32_e64 v28, s5, s21, v28, s5
	s_lshl_b32 s5, s16, 2
	v_or_b32_e32 v4, 0, v3
	v_cndmask_b32_e32 v2, v5, v2, vcc_lo
	s_add_i32 s5, s5, 28
	v_readfirstlane_b32 s20, v27
	s_and_b32 s5, s5, 0x1e0
	v_cndmask_b32_e32 v10, v4, v3, vcc_lo
	v_readfirstlane_b32 s21, v28
	v_and_or_b32 v9, 0xffffff1f, v2, s5
	global_store_dwordx4 v36, v[9:12], s[20:21]
	global_store_dwordx4 v36, v[13:16], s[20:21] offset:16
	global_store_dwordx4 v36, v[17:20], s[20:21] offset:32
	;; [unrolled: 1-line block ×3, first 2 shown]
	s_and_saveexec_b32 s5, s4
	s_cbranch_execz .LBB3_1615
; %bb.1608:                             ;   in Loop: Header=BB3_1550 Depth=1
	s_clause 0x1
	global_load_dwordx2 v[13:14], v6, s[26:27] offset:32 glc dlc
	global_load_dwordx2 v[2:3], v6, s[26:27] offset:40
	v_mov_b32_e32 v11, s18
	v_mov_b32_e32 v12, s19
	s_waitcnt vmcnt(0)
	v_readfirstlane_b32 s20, v2
	v_readfirstlane_b32 s21, v3
	s_and_b64 s[20:21], s[20:21], s[18:19]
	s_mul_i32 s13, s21, 24
	s_mul_hi_u32 s21, s20, 24
	s_mul_i32 s20, s20, 24
	s_add_i32 s21, s21, s13
	v_add_co_u32 v9, vcc_lo, v25, s20
	v_add_co_ci_u32_e32 v10, vcc_lo, s21, v26, vcc_lo
	s_mov_b32 s13, exec_lo
	global_store_dwordx2 v[9:10], v[13:14], off
	s_waitcnt_vscnt null, 0x0
	global_atomic_cmpswap_x2 v[4:5], v6, v[11:14], s[26:27] offset:32 glc
	s_waitcnt vmcnt(0)
	v_cmpx_ne_u64_e64 v[4:5], v[13:14]
	s_cbranch_execz .LBB3_1611
; %bb.1609:                             ;   in Loop: Header=BB3_1550 Depth=1
	s_mov_b32 s20, 0
.LBB3_1610:                             ;   Parent Loop BB3_1550 Depth=1
                                        ; =>  This Inner Loop Header: Depth=2
	v_mov_b32_e32 v2, s18
	v_mov_b32_e32 v3, s19
	s_sleep 1
	global_store_dwordx2 v[9:10], v[4:5], off
	s_waitcnt_vscnt null, 0x0
	global_atomic_cmpswap_x2 v[2:3], v6, v[2:5], s[26:27] offset:32 glc
	s_waitcnt vmcnt(0)
	v_cmp_eq_u64_e32 vcc_lo, v[2:3], v[4:5]
	v_mov_b32_e32 v5, v3
	v_mov_b32_e32 v4, v2
	s_or_b32 s20, vcc_lo, s20
	s_andn2_b32 exec_lo, exec_lo, s20
	s_cbranch_execnz .LBB3_1610
.LBB3_1611:                             ;   in Loop: Header=BB3_1550 Depth=1
	s_or_b32 exec_lo, exec_lo, s13
	global_load_dwordx2 v[2:3], v6, s[26:27] offset:16
	s_mov_b32 s20, exec_lo
	s_mov_b32 s13, exec_lo
	v_mbcnt_lo_u32_b32 v4, s20, 0
	v_cmpx_eq_u32_e32 0, v4
	s_cbranch_execz .LBB3_1613
; %bb.1612:                             ;   in Loop: Header=BB3_1550 Depth=1
	s_bcnt1_i32_b32 s20, s20
	v_mov_b32_e32 v5, s20
	s_waitcnt vmcnt(0)
	global_atomic_add_x2 v[2:3], v[5:6], off offset:8
.LBB3_1613:                             ;   in Loop: Header=BB3_1550 Depth=1
	s_or_b32 exec_lo, exec_lo, s13
	s_waitcnt vmcnt(0)
	global_load_dwordx2 v[9:10], v[2:3], off offset:16
	s_waitcnt vmcnt(0)
	v_cmp_eq_u64_e32 vcc_lo, 0, v[9:10]
	s_cbranch_vccnz .LBB3_1615
; %bb.1614:                             ;   in Loop: Header=BB3_1550 Depth=1
	global_load_dword v5, v[2:3], off offset:24
	s_waitcnt vmcnt(0)
	v_and_b32_e32 v2, 0x7fffff, v5
	s_waitcnt_vscnt null, 0x0
	global_store_dwordx2 v[9:10], v[5:6], off
	v_readfirstlane_b32 m0, v2
	s_sendmsg sendmsg(MSG_INTERRUPT)
.LBB3_1615:                             ;   in Loop: Header=BB3_1550 Depth=1
	s_or_b32 exec_lo, exec_lo, s5
	v_add_co_u32 v2, vcc_lo, v27, v36
	v_add_co_ci_u32_e32 v3, vcc_lo, 0, v28, vcc_lo
	s_branch .LBB3_1619
	.p2align	6
.LBB3_1616:                             ;   in Loop: Header=BB3_1619 Depth=2
	s_or_b32 exec_lo, exec_lo, s5
	v_readfirstlane_b32 s5, v4
	s_cmp_eq_u32 s5, 0
	s_cbranch_scc1 .LBB3_1618
; %bb.1617:                             ;   in Loop: Header=BB3_1619 Depth=2
	s_sleep 1
	s_cbranch_execnz .LBB3_1619
	s_branch .LBB3_1621
	.p2align	6
.LBB3_1618:                             ;   in Loop: Header=BB3_1550 Depth=1
	s_branch .LBB3_1621
.LBB3_1619:                             ;   Parent Loop BB3_1550 Depth=1
                                        ; =>  This Inner Loop Header: Depth=2
	v_mov_b32_e32 v4, 1
	s_and_saveexec_b32 s5, s4
	s_cbranch_execz .LBB3_1616
; %bb.1620:                             ;   in Loop: Header=BB3_1619 Depth=2
	global_load_dword v4, v[29:30], off offset:20 glc dlc
	s_waitcnt vmcnt(0)
	buffer_gl1_inv
	buffer_gl0_inv
	v_and_b32_e32 v4, 1, v4
	s_branch .LBB3_1616
.LBB3_1621:                             ;   in Loop: Header=BB3_1550 Depth=1
	global_load_dwordx4 v[2:5], v[2:3], off
	s_and_saveexec_b32 s5, s4
	s_cbranch_execz .LBB3_1549
; %bb.1622:                             ;   in Loop: Header=BB3_1550 Depth=1
	s_clause 0x2
	global_load_dwordx2 v[4:5], v6, s[26:27] offset:40
	global_load_dwordx2 v[13:14], v6, s[26:27] offset:24 glc dlc
	global_load_dwordx2 v[11:12], v6, s[26:27]
	s_waitcnt vmcnt(2)
	v_add_co_u32 v15, vcc_lo, v4, 1
	v_add_co_ci_u32_e32 v16, vcc_lo, 0, v5, vcc_lo
	v_add_co_u32 v9, vcc_lo, v15, s18
	v_add_co_ci_u32_e32 v10, vcc_lo, s19, v16, vcc_lo
	v_cmp_eq_u64_e32 vcc_lo, 0, v[9:10]
	v_cndmask_b32_e32 v10, v10, v16, vcc_lo
	v_cndmask_b32_e32 v9, v9, v15, vcc_lo
	v_and_b32_e32 v5, v10, v5
	v_and_b32_e32 v4, v9, v4
	v_mul_lo_u32 v5, v5, 24
	v_mul_hi_u32 v15, v4, 24
	v_mul_lo_u32 v4, v4, 24
	v_add_nc_u32_e32 v5, v15, v5
	s_waitcnt vmcnt(0)
	v_add_co_u32 v4, vcc_lo, v11, v4
	v_mov_b32_e32 v11, v13
	v_add_co_ci_u32_e32 v5, vcc_lo, v12, v5, vcc_lo
	v_mov_b32_e32 v12, v14
	global_store_dwordx2 v[4:5], v[13:14], off
	s_waitcnt_vscnt null, 0x0
	global_atomic_cmpswap_x2 v[11:12], v6, v[9:12], s[26:27] offset:24 glc
	s_waitcnt vmcnt(0)
	v_cmp_ne_u64_e32 vcc_lo, v[11:12], v[13:14]
	s_and_b32 exec_lo, exec_lo, vcc_lo
	s_cbranch_execz .LBB3_1549
; %bb.1623:                             ;   in Loop: Header=BB3_1550 Depth=1
	s_mov_b32 s4, 0
.LBB3_1624:                             ;   Parent Loop BB3_1550 Depth=1
                                        ; =>  This Inner Loop Header: Depth=2
	s_sleep 1
	global_store_dwordx2 v[4:5], v[11:12], off
	s_waitcnt_vscnt null, 0x0
	global_atomic_cmpswap_x2 v[13:14], v6, v[9:12], s[26:27] offset:24 glc
	s_waitcnt vmcnt(0)
	v_cmp_eq_u64_e32 vcc_lo, v[13:14], v[11:12]
	v_mov_b32_e32 v11, v13
	v_mov_b32_e32 v12, v14
	s_or_b32 s4, vcc_lo, s4
	s_andn2_b32 exec_lo, exec_lo, s4
	s_cbranch_execnz .LBB3_1624
	s_branch .LBB3_1549
.LBB3_1625:
	s_branch .LBB3_1654
.LBB3_1626:
                                        ; implicit-def: $vgpr2_vgpr3
	s_cbranch_execz .LBB3_1654
; %bb.1627:
	v_readfirstlane_b32 s4, v37
	v_mov_b32_e32 v8, 0
	v_mov_b32_e32 v9, 0
	v_cmp_eq_u32_e64 s4, s4, v37
	s_and_saveexec_b32 s5, s4
	s_cbranch_execz .LBB3_1633
; %bb.1628:
	s_waitcnt vmcnt(0)
	v_mov_b32_e32 v2, 0
	s_mov_b32 s8, exec_lo
	global_load_dwordx2 v[5:6], v2, s[26:27] offset:24 glc dlc
	s_waitcnt vmcnt(0)
	buffer_gl1_inv
	buffer_gl0_inv
	s_clause 0x1
	global_load_dwordx2 v[3:4], v2, s[26:27] offset:40
	global_load_dwordx2 v[7:8], v2, s[26:27]
	s_waitcnt vmcnt(1)
	v_and_b32_e32 v4, v4, v6
	v_and_b32_e32 v3, v3, v5
	v_mul_lo_u32 v4, v4, 24
	v_mul_hi_u32 v9, v3, 24
	v_mul_lo_u32 v3, v3, 24
	v_add_nc_u32_e32 v4, v9, v4
	s_waitcnt vmcnt(0)
	v_add_co_u32 v3, vcc_lo, v7, v3
	v_add_co_ci_u32_e32 v4, vcc_lo, v8, v4, vcc_lo
	global_load_dwordx2 v[3:4], v[3:4], off glc dlc
	s_waitcnt vmcnt(0)
	global_atomic_cmpswap_x2 v[8:9], v2, v[3:6], s[26:27] offset:24 glc
	s_waitcnt vmcnt(0)
	buffer_gl1_inv
	buffer_gl0_inv
	v_cmpx_ne_u64_e64 v[8:9], v[5:6]
	s_cbranch_execz .LBB3_1632
; %bb.1629:
	s_mov_b32 s9, 0
	.p2align	6
.LBB3_1630:                             ; =>This Inner Loop Header: Depth=1
	s_sleep 1
	s_clause 0x1
	global_load_dwordx2 v[3:4], v2, s[26:27] offset:40
	global_load_dwordx2 v[10:11], v2, s[26:27]
	v_mov_b32_e32 v5, v8
	v_mov_b32_e32 v6, v9
	s_waitcnt vmcnt(1)
	v_and_b32_e32 v3, v3, v5
	v_and_b32_e32 v4, v4, v6
	s_waitcnt vmcnt(0)
	v_mad_u64_u32 v[7:8], null, v3, 24, v[10:11]
	v_mov_b32_e32 v3, v8
	v_mad_u64_u32 v[3:4], null, v4, 24, v[3:4]
	v_mov_b32_e32 v8, v3
	global_load_dwordx2 v[3:4], v[7:8], off glc dlc
	s_waitcnt vmcnt(0)
	global_atomic_cmpswap_x2 v[8:9], v2, v[3:6], s[26:27] offset:24 glc
	s_waitcnt vmcnt(0)
	buffer_gl1_inv
	buffer_gl0_inv
	v_cmp_eq_u64_e32 vcc_lo, v[8:9], v[5:6]
	s_or_b32 s9, vcc_lo, s9
	s_andn2_b32 exec_lo, exec_lo, s9
	s_cbranch_execnz .LBB3_1630
; %bb.1631:
	s_or_b32 exec_lo, exec_lo, s9
.LBB3_1632:
	s_or_b32 exec_lo, exec_lo, s8
.LBB3_1633:
	s_or_b32 exec_lo, exec_lo, s5
	s_waitcnt vmcnt(0)
	v_mov_b32_e32 v2, 0
	v_readfirstlane_b32 s8, v8
	v_readfirstlane_b32 s9, v9
	s_mov_b32 s5, exec_lo
	s_clause 0x1
	global_load_dwordx2 v[10:11], v2, s[26:27] offset:40
	global_load_dwordx4 v[4:7], v2, s[26:27]
	s_waitcnt vmcnt(1)
	v_readfirstlane_b32 s14, v10
	v_readfirstlane_b32 s15, v11
	s_and_b64 s[14:15], s[8:9], s[14:15]
	s_mul_i32 s13, s15, 24
	s_mul_hi_u32 s16, s14, 24
	s_mul_i32 s17, s14, 24
	s_add_i32 s16, s16, s13
	s_waitcnt vmcnt(0)
	v_add_co_u32 v8, vcc_lo, v4, s17
	v_add_co_ci_u32_e32 v9, vcc_lo, s16, v5, vcc_lo
	s_and_saveexec_b32 s13, s4
	s_cbranch_execz .LBB3_1635
; %bb.1634:
	v_mov_b32_e32 v10, s5
	v_mov_b32_e32 v11, v2
	;; [unrolled: 1-line block ×4, first 2 shown]
	global_store_dwordx4 v[8:9], v[10:13], off offset:8
.LBB3_1635:
	s_or_b32 exec_lo, exec_lo, s13
	s_lshl_b64 s[14:15], s[14:15], 12
	s_mov_b32 s16, 0
	v_add_co_u32 v6, vcc_lo, v6, s14
	v_add_co_ci_u32_e32 v7, vcc_lo, s15, v7, vcc_lo
	s_mov_b32 s17, s16
	v_readfirstlane_b32 s14, v6
	v_add_co_u32 v6, vcc_lo, v6, v36
	s_mov_b32 s18, s16
	s_mov_b32 s19, s16
	v_and_or_b32 v0, 0xffffff1f, v0, 32
	v_mov_b32_e32 v3, v2
	v_readfirstlane_b32 s15, v7
	v_mov_b32_e32 v10, s16
	v_add_co_ci_u32_e32 v7, vcc_lo, 0, v7, vcc_lo
	v_mov_b32_e32 v11, s17
	v_mov_b32_e32 v12, s18
	v_mov_b32_e32 v13, s19
	global_store_dwordx4 v36, v[0:3], s[14:15]
	global_store_dwordx4 v36, v[10:13], s[14:15] offset:16
	global_store_dwordx4 v36, v[10:13], s[14:15] offset:32
	;; [unrolled: 1-line block ×3, first 2 shown]
	s_and_saveexec_b32 s5, s4
	s_cbranch_execz .LBB3_1643
; %bb.1636:
	v_mov_b32_e32 v10, 0
	v_mov_b32_e32 v11, s8
	;; [unrolled: 1-line block ×3, first 2 shown]
	s_clause 0x1
	global_load_dwordx2 v[13:14], v10, s[26:27] offset:32 glc dlc
	global_load_dwordx2 v[0:1], v10, s[26:27] offset:40
	s_waitcnt vmcnt(0)
	v_readfirstlane_b32 s14, v0
	v_readfirstlane_b32 s15, v1
	s_and_b64 s[14:15], s[14:15], s[8:9]
	s_mul_i32 s13, s15, 24
	s_mul_hi_u32 s15, s14, 24
	s_mul_i32 s14, s14, 24
	s_add_i32 s15, s15, s13
	v_add_co_u32 v4, vcc_lo, v4, s14
	v_add_co_ci_u32_e32 v5, vcc_lo, s15, v5, vcc_lo
	s_mov_b32 s13, exec_lo
	global_store_dwordx2 v[4:5], v[13:14], off
	s_waitcnt_vscnt null, 0x0
	global_atomic_cmpswap_x2 v[2:3], v10, v[11:14], s[26:27] offset:32 glc
	s_waitcnt vmcnt(0)
	v_cmpx_ne_u64_e64 v[2:3], v[13:14]
	s_cbranch_execz .LBB3_1639
; %bb.1637:
	s_mov_b32 s14, 0
.LBB3_1638:                             ; =>This Inner Loop Header: Depth=1
	v_mov_b32_e32 v0, s8
	v_mov_b32_e32 v1, s9
	s_sleep 1
	global_store_dwordx2 v[4:5], v[2:3], off
	s_waitcnt_vscnt null, 0x0
	global_atomic_cmpswap_x2 v[0:1], v10, v[0:3], s[26:27] offset:32 glc
	s_waitcnt vmcnt(0)
	v_cmp_eq_u64_e32 vcc_lo, v[0:1], v[2:3]
	v_mov_b32_e32 v3, v1
	v_mov_b32_e32 v2, v0
	s_or_b32 s14, vcc_lo, s14
	s_andn2_b32 exec_lo, exec_lo, s14
	s_cbranch_execnz .LBB3_1638
.LBB3_1639:
	s_or_b32 exec_lo, exec_lo, s13
	v_mov_b32_e32 v3, 0
	s_mov_b32 s14, exec_lo
	s_mov_b32 s13, exec_lo
	v_mbcnt_lo_u32_b32 v2, s14, 0
	global_load_dwordx2 v[0:1], v3, s[26:27] offset:16
	v_cmpx_eq_u32_e32 0, v2
	s_cbranch_execz .LBB3_1641
; %bb.1640:
	s_bcnt1_i32_b32 s14, s14
	v_mov_b32_e32 v2, s14
	s_waitcnt vmcnt(0)
	global_atomic_add_x2 v[0:1], v[2:3], off offset:8
.LBB3_1641:
	s_or_b32 exec_lo, exec_lo, s13
	s_waitcnt vmcnt(0)
	global_load_dwordx2 v[2:3], v[0:1], off offset:16
	s_waitcnt vmcnt(0)
	v_cmp_eq_u64_e32 vcc_lo, 0, v[2:3]
	s_cbranch_vccnz .LBB3_1643
; %bb.1642:
	global_load_dword v0, v[0:1], off offset:24
	v_mov_b32_e32 v1, 0
	s_waitcnt vmcnt(0)
	v_and_b32_e32 v4, 0x7fffff, v0
	s_waitcnt_vscnt null, 0x0
	global_store_dwordx2 v[2:3], v[0:1], off
	v_readfirstlane_b32 m0, v4
	s_sendmsg sendmsg(MSG_INTERRUPT)
.LBB3_1643:
	s_or_b32 exec_lo, exec_lo, s5
	s_branch .LBB3_1647
	.p2align	6
.LBB3_1644:                             ;   in Loop: Header=BB3_1647 Depth=1
	s_or_b32 exec_lo, exec_lo, s5
	v_readfirstlane_b32 s5, v0
	s_cmp_eq_u32 s5, 0
	s_cbranch_scc1 .LBB3_1646
; %bb.1645:                             ;   in Loop: Header=BB3_1647 Depth=1
	s_sleep 1
	s_cbranch_execnz .LBB3_1647
	s_branch .LBB3_1649
	.p2align	6
.LBB3_1646:
	s_branch .LBB3_1649
.LBB3_1647:                             ; =>This Inner Loop Header: Depth=1
	v_mov_b32_e32 v0, 1
	s_and_saveexec_b32 s5, s4
	s_cbranch_execz .LBB3_1644
; %bb.1648:                             ;   in Loop: Header=BB3_1647 Depth=1
	global_load_dword v0, v[8:9], off offset:20 glc dlc
	s_waitcnt vmcnt(0)
	buffer_gl1_inv
	buffer_gl0_inv
	v_and_b32_e32 v0, 1, v0
	s_branch .LBB3_1644
.LBB3_1649:
	global_load_dwordx2 v[2:3], v[6:7], off
	s_and_saveexec_b32 s5, s4
	s_cbranch_execz .LBB3_1653
; %bb.1650:
	v_mov_b32_e32 v8, 0
	s_clause 0x2
	global_load_dwordx2 v[0:1], v8, s[26:27] offset:40
	global_load_dwordx2 v[9:10], v8, s[26:27] offset:24 glc dlc
	global_load_dwordx2 v[6:7], v8, s[26:27]
	s_waitcnt vmcnt(2)
	v_add_co_u32 v11, vcc_lo, v0, 1
	v_add_co_ci_u32_e32 v12, vcc_lo, 0, v1, vcc_lo
	v_add_co_u32 v4, vcc_lo, v11, s8
	v_add_co_ci_u32_e32 v5, vcc_lo, s9, v12, vcc_lo
	v_cmp_eq_u64_e32 vcc_lo, 0, v[4:5]
	v_cndmask_b32_e32 v5, v5, v12, vcc_lo
	v_cndmask_b32_e32 v4, v4, v11, vcc_lo
	v_and_b32_e32 v1, v5, v1
	v_and_b32_e32 v0, v4, v0
	v_mul_lo_u32 v1, v1, 24
	v_mul_hi_u32 v11, v0, 24
	v_mul_lo_u32 v0, v0, 24
	v_add_nc_u32_e32 v1, v11, v1
	s_waitcnt vmcnt(0)
	v_add_co_u32 v0, vcc_lo, v6, v0
	v_mov_b32_e32 v6, v9
	v_add_co_ci_u32_e32 v1, vcc_lo, v7, v1, vcc_lo
	v_mov_b32_e32 v7, v10
	global_store_dwordx2 v[0:1], v[9:10], off
	s_waitcnt_vscnt null, 0x0
	global_atomic_cmpswap_x2 v[6:7], v8, v[4:7], s[26:27] offset:24 glc
	s_waitcnt vmcnt(0)
	v_cmp_ne_u64_e32 vcc_lo, v[6:7], v[9:10]
	s_and_b32 exec_lo, exec_lo, vcc_lo
	s_cbranch_execz .LBB3_1653
; %bb.1651:
	s_mov_b32 s4, 0
.LBB3_1652:                             ; =>This Inner Loop Header: Depth=1
	s_sleep 1
	global_store_dwordx2 v[0:1], v[6:7], off
	s_waitcnt_vscnt null, 0x0
	global_atomic_cmpswap_x2 v[9:10], v8, v[4:7], s[26:27] offset:24 glc
	s_waitcnt vmcnt(0)
	v_cmp_eq_u64_e32 vcc_lo, v[9:10], v[6:7]
	v_mov_b32_e32 v6, v9
	v_mov_b32_e32 v7, v10
	s_or_b32 s4, vcc_lo, s4
	s_andn2_b32 exec_lo, exec_lo, s4
	s_cbranch_execnz .LBB3_1652
.LBB3_1653:
	s_or_b32 exec_lo, exec_lo, s5
.LBB3_1654:
	v_readfirstlane_b32 s4, v37
	s_waitcnt vmcnt(0)
	v_mov_b32_e32 v0, 0
	v_mov_b32_e32 v1, 0
	v_cmp_eq_u32_e64 s4, s4, v37
	s_and_saveexec_b32 s5, s4
	s_cbranch_execz .LBB3_1660
; %bb.1655:
	v_mov_b32_e32 v4, 0
	s_mov_b32 s8, exec_lo
	global_load_dwordx2 v[7:8], v4, s[26:27] offset:24 glc dlc
	s_waitcnt vmcnt(0)
	buffer_gl1_inv
	buffer_gl0_inv
	s_clause 0x1
	global_load_dwordx2 v[0:1], v4, s[26:27] offset:40
	global_load_dwordx2 v[5:6], v4, s[26:27]
	s_waitcnt vmcnt(1)
	v_and_b32_e32 v1, v1, v8
	v_and_b32_e32 v0, v0, v7
	v_mul_lo_u32 v1, v1, 24
	v_mul_hi_u32 v9, v0, 24
	v_mul_lo_u32 v0, v0, 24
	v_add_nc_u32_e32 v1, v9, v1
	s_waitcnt vmcnt(0)
	v_add_co_u32 v0, vcc_lo, v5, v0
	v_add_co_ci_u32_e32 v1, vcc_lo, v6, v1, vcc_lo
	global_load_dwordx2 v[5:6], v[0:1], off glc dlc
	s_waitcnt vmcnt(0)
	global_atomic_cmpswap_x2 v[0:1], v4, v[5:8], s[26:27] offset:24 glc
	s_waitcnt vmcnt(0)
	buffer_gl1_inv
	buffer_gl0_inv
	v_cmpx_ne_u64_e64 v[0:1], v[7:8]
	s_cbranch_execz .LBB3_1659
; %bb.1656:
	s_mov_b32 s9, 0
	.p2align	6
.LBB3_1657:                             ; =>This Inner Loop Header: Depth=1
	s_sleep 1
	s_clause 0x1
	global_load_dwordx2 v[5:6], v4, s[26:27] offset:40
	global_load_dwordx2 v[9:10], v4, s[26:27]
	v_mov_b32_e32 v8, v1
	v_mov_b32_e32 v7, v0
	s_waitcnt vmcnt(1)
	v_and_b32_e32 v0, v5, v7
	v_and_b32_e32 v5, v6, v8
	s_waitcnt vmcnt(0)
	v_mad_u64_u32 v[0:1], null, v0, 24, v[9:10]
	v_mad_u64_u32 v[5:6], null, v5, 24, v[1:2]
	v_mov_b32_e32 v1, v5
	global_load_dwordx2 v[5:6], v[0:1], off glc dlc
	s_waitcnt vmcnt(0)
	global_atomic_cmpswap_x2 v[0:1], v4, v[5:8], s[26:27] offset:24 glc
	s_waitcnt vmcnt(0)
	buffer_gl1_inv
	buffer_gl0_inv
	v_cmp_eq_u64_e32 vcc_lo, v[0:1], v[7:8]
	s_or_b32 s9, vcc_lo, s9
	s_andn2_b32 exec_lo, exec_lo, s9
	s_cbranch_execnz .LBB3_1657
; %bb.1658:
	s_or_b32 exec_lo, exec_lo, s9
.LBB3_1659:
	s_or_b32 exec_lo, exec_lo, s8
.LBB3_1660:
	s_or_b32 exec_lo, exec_lo, s5
	v_mov_b32_e32 v5, 0
	v_readfirstlane_b32 s8, v0
	v_readfirstlane_b32 s9, v1
	s_mov_b32 s5, exec_lo
	s_clause 0x1
	global_load_dwordx2 v[10:11], v5, s[26:27] offset:40
	global_load_dwordx4 v[6:9], v5, s[26:27]
	s_waitcnt vmcnt(1)
	v_readfirstlane_b32 s14, v10
	v_readfirstlane_b32 s15, v11
	s_and_b64 s[14:15], s[8:9], s[14:15]
	s_mul_i32 s13, s15, 24
	s_mul_hi_u32 s16, s14, 24
	s_mul_i32 s17, s14, 24
	s_add_i32 s16, s16, s13
	s_waitcnt vmcnt(0)
	v_add_co_u32 v10, vcc_lo, v6, s17
	v_add_co_ci_u32_e32 v11, vcc_lo, s16, v7, vcc_lo
	s_and_saveexec_b32 s13, s4
	s_cbranch_execz .LBB3_1662
; %bb.1661:
	v_mov_b32_e32 v4, s5
	v_mov_b32_e32 v13, v5
	;; [unrolled: 1-line block ×5, first 2 shown]
	global_store_dwordx4 v[10:11], v[12:15], off offset:8
.LBB3_1662:
	s_or_b32 exec_lo, exec_lo, s13
	s_lshl_b64 s[14:15], s[14:15], 12
	s_mov_b32 s16, 0
	v_add_co_u32 v0, vcc_lo, v8, s14
	v_add_co_ci_u32_e32 v1, vcc_lo, s15, v9, vcc_lo
	s_mov_b32 s17, s16
	s_mov_b32 s18, s16
	;; [unrolled: 1-line block ×3, first 2 shown]
	v_and_or_b32 v2, 0xffffff1d, v2, 34
	v_mov_b32_e32 v4, 10
	v_readfirstlane_b32 s14, v0
	v_readfirstlane_b32 s15, v1
	v_mov_b32_e32 v12, s16
	v_mov_b32_e32 v13, s17
	;; [unrolled: 1-line block ×4, first 2 shown]
	global_store_dwordx4 v36, v[2:5], s[14:15]
	global_store_dwordx4 v36, v[12:15], s[14:15] offset:16
	global_store_dwordx4 v36, v[12:15], s[14:15] offset:32
	;; [unrolled: 1-line block ×3, first 2 shown]
	s_and_saveexec_b32 s5, s4
	s_cbranch_execz .LBB3_1670
; %bb.1663:
	v_mov_b32_e32 v8, 0
	v_mov_b32_e32 v12, s8
	;; [unrolled: 1-line block ×3, first 2 shown]
	s_clause 0x1
	global_load_dwordx2 v[14:15], v8, s[26:27] offset:32 glc dlc
	global_load_dwordx2 v[0:1], v8, s[26:27] offset:40
	s_waitcnt vmcnt(0)
	v_readfirstlane_b32 s14, v0
	v_readfirstlane_b32 s15, v1
	s_and_b64 s[14:15], s[14:15], s[8:9]
	s_mul_i32 s13, s15, 24
	s_mul_hi_u32 s15, s14, 24
	s_mul_i32 s14, s14, 24
	s_add_i32 s15, s15, s13
	v_add_co_u32 v4, vcc_lo, v6, s14
	v_add_co_ci_u32_e32 v5, vcc_lo, s15, v7, vcc_lo
	s_mov_b32 s13, exec_lo
	global_store_dwordx2 v[4:5], v[14:15], off
	s_waitcnt_vscnt null, 0x0
	global_atomic_cmpswap_x2 v[2:3], v8, v[12:15], s[26:27] offset:32 glc
	s_waitcnt vmcnt(0)
	v_cmpx_ne_u64_e64 v[2:3], v[14:15]
	s_cbranch_execz .LBB3_1666
; %bb.1664:
	s_mov_b32 s14, 0
.LBB3_1665:                             ; =>This Inner Loop Header: Depth=1
	v_mov_b32_e32 v0, s8
	v_mov_b32_e32 v1, s9
	s_sleep 1
	global_store_dwordx2 v[4:5], v[2:3], off
	s_waitcnt_vscnt null, 0x0
	global_atomic_cmpswap_x2 v[0:1], v8, v[0:3], s[26:27] offset:32 glc
	s_waitcnt vmcnt(0)
	v_cmp_eq_u64_e32 vcc_lo, v[0:1], v[2:3]
	v_mov_b32_e32 v3, v1
	v_mov_b32_e32 v2, v0
	s_or_b32 s14, vcc_lo, s14
	s_andn2_b32 exec_lo, exec_lo, s14
	s_cbranch_execnz .LBB3_1665
.LBB3_1666:
	s_or_b32 exec_lo, exec_lo, s13
	v_mov_b32_e32 v3, 0
	s_mov_b32 s14, exec_lo
	s_mov_b32 s13, exec_lo
	v_mbcnt_lo_u32_b32 v2, s14, 0
	global_load_dwordx2 v[0:1], v3, s[26:27] offset:16
	v_cmpx_eq_u32_e32 0, v2
	s_cbranch_execz .LBB3_1668
; %bb.1667:
	s_bcnt1_i32_b32 s14, s14
	v_mov_b32_e32 v2, s14
	s_waitcnt vmcnt(0)
	global_atomic_add_x2 v[0:1], v[2:3], off offset:8
.LBB3_1668:
	s_or_b32 exec_lo, exec_lo, s13
	s_waitcnt vmcnt(0)
	global_load_dwordx2 v[2:3], v[0:1], off offset:16
	s_waitcnt vmcnt(0)
	v_cmp_eq_u64_e32 vcc_lo, 0, v[2:3]
	s_cbranch_vccnz .LBB3_1670
; %bb.1669:
	global_load_dword v0, v[0:1], off offset:24
	v_mov_b32_e32 v1, 0
	s_waitcnt vmcnt(0)
	v_and_b32_e32 v4, 0x7fffff, v0
	s_waitcnt_vscnt null, 0x0
	global_store_dwordx2 v[2:3], v[0:1], off
	v_readfirstlane_b32 m0, v4
	s_sendmsg sendmsg(MSG_INTERRUPT)
.LBB3_1670:
	s_or_b32 exec_lo, exec_lo, s5
	s_branch .LBB3_1674
	.p2align	6
.LBB3_1671:                             ;   in Loop: Header=BB3_1674 Depth=1
	s_or_b32 exec_lo, exec_lo, s5
	v_readfirstlane_b32 s5, v0
	s_cmp_eq_u32 s5, 0
	s_cbranch_scc1 .LBB3_1673
; %bb.1672:                             ;   in Loop: Header=BB3_1674 Depth=1
	s_sleep 1
	s_cbranch_execnz .LBB3_1674
	s_branch .LBB3_1676
	.p2align	6
.LBB3_1673:
	s_branch .LBB3_1676
.LBB3_1674:                             ; =>This Inner Loop Header: Depth=1
	v_mov_b32_e32 v0, 1
	s_and_saveexec_b32 s5, s4
	s_cbranch_execz .LBB3_1671
; %bb.1675:                             ;   in Loop: Header=BB3_1674 Depth=1
	global_load_dword v0, v[10:11], off offset:20 glc dlc
	s_waitcnt vmcnt(0)
	buffer_gl1_inv
	buffer_gl0_inv
	v_and_b32_e32 v0, 1, v0
	s_branch .LBB3_1671
.LBB3_1676:
	s_and_saveexec_b32 s5, s4
	s_cbranch_execz .LBB3_1680
; %bb.1677:
	v_mov_b32_e32 v6, 0
	s_clause 0x2
	global_load_dwordx2 v[2:3], v6, s[26:27] offset:40
	global_load_dwordx2 v[7:8], v6, s[26:27] offset:24 glc dlc
	global_load_dwordx2 v[4:5], v6, s[26:27]
	s_waitcnt vmcnt(2)
	v_add_co_u32 v9, vcc_lo, v2, 1
	v_add_co_ci_u32_e32 v10, vcc_lo, 0, v3, vcc_lo
	v_add_co_u32 v0, vcc_lo, v9, s8
	v_add_co_ci_u32_e32 v1, vcc_lo, s9, v10, vcc_lo
	v_cmp_eq_u64_e32 vcc_lo, 0, v[0:1]
	v_cndmask_b32_e32 v1, v1, v10, vcc_lo
	v_cndmask_b32_e32 v0, v0, v9, vcc_lo
	v_and_b32_e32 v3, v1, v3
	v_and_b32_e32 v2, v0, v2
	v_mul_lo_u32 v3, v3, 24
	v_mul_hi_u32 v9, v2, 24
	v_mul_lo_u32 v2, v2, 24
	v_add_nc_u32_e32 v3, v9, v3
	s_waitcnt vmcnt(0)
	v_add_co_u32 v4, vcc_lo, v4, v2
	v_mov_b32_e32 v2, v7
	v_add_co_ci_u32_e32 v5, vcc_lo, v5, v3, vcc_lo
	v_mov_b32_e32 v3, v8
	global_store_dwordx2 v[4:5], v[7:8], off
	s_waitcnt_vscnt null, 0x0
	global_atomic_cmpswap_x2 v[2:3], v6, v[0:3], s[26:27] offset:24 glc
	s_waitcnt vmcnt(0)
	v_cmp_ne_u64_e32 vcc_lo, v[2:3], v[7:8]
	s_and_b32 exec_lo, exec_lo, vcc_lo
	s_cbranch_execz .LBB3_1680
; %bb.1678:
	s_mov_b32 s4, 0
.LBB3_1679:                             ; =>This Inner Loop Header: Depth=1
	s_sleep 1
	global_store_dwordx2 v[4:5], v[2:3], off
	s_waitcnt_vscnt null, 0x0
	global_atomic_cmpswap_x2 v[7:8], v6, v[0:3], s[26:27] offset:24 glc
	s_waitcnt vmcnt(0)
	v_cmp_eq_u64_e32 vcc_lo, v[7:8], v[2:3]
	v_mov_b32_e32 v2, v7
	v_mov_b32_e32 v3, v8
	s_or_b32 s4, vcc_lo, s4
	s_andn2_b32 exec_lo, exec_lo, s4
	s_cbranch_execnz .LBB3_1679
.LBB3_1680:
	s_or_b32 exec_lo, exec_lo, s5
	s_load_dwordx2 s[4:5], s[6:7], 0x8
	v_mov_b32_e32 v0, 0
	s_waitcnt lgkmcnt(0)
	global_load_dword v1, v0, s[4:5]
	s_waitcnt vmcnt(0)
	v_add_nc_u32_e32 v1, 1, v1
	global_store_dword v0, v1, s[4:5]
.LBB3_1681:
	s_or_b32 exec_lo, exec_lo, s34
	s_add_u32 s8, s6, 16
	s_mov_b32 s14, s12
	s_addc_u32 s9, s7, 0
	s_mov_b32 s12, s10
	s_mov_b32 s13, s11
	s_getpc_b64 s[4:5]
	s_add_u32 s4, s4, _ZN8migraphx4test4failEv@rel32@lo+4
	s_addc_u32 s5, s5, _ZN8migraphx4test4failEv@rel32@hi+12
	s_swappc_b64 s[30:31], s[4:5]
	; divergent unreachable
.LBB3_1682:
	s_andn2_saveexec_b32 s4, s33
.LBB3_1683:
	s_endpgm
	.section	.rodata,"a",@progbits
	.p2align	6, 0x0
	.amdhsa_kernel gpu_test_kernel
		.amdhsa_group_segment_fixed_size 16384
		.amdhsa_private_segment_fixed_size 32
		.amdhsa_kernarg_size 272
		.amdhsa_user_sgpr_count 10
		.amdhsa_user_sgpr_private_segment_buffer 1
		.amdhsa_user_sgpr_dispatch_ptr 1
		.amdhsa_user_sgpr_queue_ptr 0
		.amdhsa_user_sgpr_kernarg_segment_ptr 1
		.amdhsa_user_sgpr_dispatch_id 0
		.amdhsa_user_sgpr_flat_scratch_init 1
		.amdhsa_user_sgpr_private_segment_size 0
		.amdhsa_wavefront_size32 1
		.amdhsa_uses_dynamic_stack 0
		.amdhsa_system_sgpr_private_segment_wavefront_offset 1
		.amdhsa_system_sgpr_workgroup_id_x 1
		.amdhsa_system_sgpr_workgroup_id_y 1
		.amdhsa_system_sgpr_workgroup_id_z 1
		.amdhsa_system_sgpr_workgroup_info 0
		.amdhsa_system_vgpr_workitem_id 2
		.amdhsa_next_free_vgpr 38
		.amdhsa_next_free_sgpr 42
		.amdhsa_reserve_vcc 1
		.amdhsa_reserve_flat_scratch 1
		.amdhsa_float_round_mode_32 0
		.amdhsa_float_round_mode_16_64 0
		.amdhsa_float_denorm_mode_32 3
		.amdhsa_float_denorm_mode_16_64 3
		.amdhsa_dx10_clamp 1
		.amdhsa_ieee_mode 1
		.amdhsa_fp16_overflow 0
		.amdhsa_workgroup_processor_mode 1
		.amdhsa_memory_ordered 1
		.amdhsa_forward_progress 0
		.amdhsa_shared_vgpr_count 0
		.amdhsa_exception_fp_ieee_invalid_op 0
		.amdhsa_exception_fp_denorm_src 0
		.amdhsa_exception_fp_ieee_div_zero 0
		.amdhsa_exception_fp_ieee_overflow 0
		.amdhsa_exception_fp_ieee_underflow 0
		.amdhsa_exception_fp_ieee_inexact 0
		.amdhsa_exception_int_div_zero 0
	.end_amdhsa_kernel
	.text
.Lfunc_end3:
	.size	gpu_test_kernel, .Lfunc_end3-gpu_test_kernel
                                        ; -- End function
	.section	.AMDGPU.csdata,"",@progbits
; Kernel info:
; codeLenInByte = 60620
; NumSgprs: 44
; NumVgprs: 38
; ScratchSize: 32
; MemoryBound: 0
; FloatMode: 240
; IeeeMode: 1
; LDSByteSize: 16384 bytes/workgroup (compile time only)
; SGPRBlocks: 5
; VGPRBlocks: 4
; NumSGPRsForWavesPerEU: 44
; NumVGPRsForWavesPerEU: 38
; Occupancy: 16
; WaveLimiterHint : 1
; COMPUTE_PGM_RSRC2:SCRATCH_EN: 1
; COMPUTE_PGM_RSRC2:USER_SGPR: 10
; COMPUTE_PGM_RSRC2:TRAP_HANDLER: 0
; COMPUTE_PGM_RSRC2:TGID_X_EN: 1
; COMPUTE_PGM_RSRC2:TGID_Y_EN: 1
; COMPUTE_PGM_RSRC2:TGID_Z_EN: 1
; COMPUTE_PGM_RSRC2:TIDIG_COMP_CNT: 2
	.text
	.p2alignl 6, 3214868480
	.fill 48, 4, 3214868480
	.type	.str.1,@object                  ; @.str.1
	.section	.rodata.str1.1,"aMS",@progbits,1
.str.1:
	.asciz	"/root/src/amdgpu-assembly/repos/ROCm__AMDMIGraphX/_shim/test_algorithm_13_shim.cpp"
	.size	.str.1, 83

	.type	.str.2,@object                  ; @.str.2
.str.2:
	.asciz	"    FAILED: "
	.size	.str.2, 13

	.type	.str.3,@object                  ; @.str.3
.str.3:
	.asciz	" [ "
	.size	.str.3, 4

	.type	.str.4,@object                  ; @.str.4
.str.4:
	.asciz	" ]"
	.size	.str.4, 3

	.type	.str.5,@object                  ; @.str.5
.str.5:
	.asciz	"%s"
	.size	.str.5, 3

	.type	.str.6,@object                  ; @.str.6
.str.6:
	.asciz	"%c"
	.size	.str.6, 3

	.type	.str.7,@object                  ; @.str.7
.str.7:
	.asciz	"%li"
	.size	.str.7, 4

	.type	.str.11,@object                 ; @.str.11
.str.11:
	.asciz	"true"
	.size	.str.11, 5

	.type	.str.12,@object                 ; @.str.12
.str.12:
	.asciz	"false"
	.size	.str.12, 6

	.type	.str.17,@object                 ; @.str.17
.str.17:
	.asciz	"migraphx::equal(a.begin(), a.end(), b.begin(), [](int x, int y) { return x == y; })"
	.size	.str.17, 84

	.type	__PRETTY_FUNCTION__._ZL10equal_trueRN8migraphx4test12test_managerE,@object ; @__PRETTY_FUNCTION__._ZL10equal_trueRN8migraphx4test12test_managerE
__PRETTY_FUNCTION__._ZL10equal_trueRN8migraphx4test12test_managerE:
	.asciz	"void equal_true(migraphx::test::test_manager &)"
	.size	__PRETTY_FUNCTION__._ZL10equal_trueRN8migraphx4test12test_managerE, 48

	.type	__hip_cuid_aea1b8e2377cdbdf,@object ; @__hip_cuid_aea1b8e2377cdbdf
	.section	.bss,"aw",@nobits
	.globl	__hip_cuid_aea1b8e2377cdbdf
__hip_cuid_aea1b8e2377cdbdf:
	.byte	0                               ; 0x0
	.size	__hip_cuid_aea1b8e2377cdbdf, 1

	.ident	"AMD clang version 19.0.0git (https://github.com/RadeonOpenCompute/llvm-project roc-6.4.0 25133 c7fe45cf4b819c5991fe208aaa96edf142730f1d)"
	.section	".note.GNU-stack","",@progbits
	.addrsig
	.addrsig_sym __hip_cuid_aea1b8e2377cdbdf
	.amdgpu_metadata
---
amdhsa.kernels:
  - .args:
      - .offset:         0
        .size:           4
        .value_kind:     by_value
      - .address_space:  global
        .offset:         8
        .size:           8
        .value_kind:     global_buffer
      - .offset:         16
        .size:           4
        .value_kind:     hidden_block_count_x
      - .offset:         20
        .size:           4
        .value_kind:     hidden_block_count_y
      - .offset:         24
        .size:           4
        .value_kind:     hidden_block_count_z
      - .offset:         28
        .size:           2
        .value_kind:     hidden_group_size_x
      - .offset:         30
        .size:           2
        .value_kind:     hidden_group_size_y
      - .offset:         32
        .size:           2
        .value_kind:     hidden_group_size_z
      - .offset:         34
        .size:           2
        .value_kind:     hidden_remainder_x
      - .offset:         36
        .size:           2
        .value_kind:     hidden_remainder_y
      - .offset:         38
        .size:           2
        .value_kind:     hidden_remainder_z
      - .offset:         56
        .size:           8
        .value_kind:     hidden_global_offset_x
      - .offset:         64
        .size:           8
        .value_kind:     hidden_global_offset_y
      - .offset:         72
        .size:           8
        .value_kind:     hidden_global_offset_z
      - .offset:         80
        .size:           2
        .value_kind:     hidden_grid_dims
      - .offset:         96
        .size:           8
        .value_kind:     hidden_hostcall_buffer
    .group_segment_fixed_size: 16384
    .kernarg_segment_align: 8
    .kernarg_segment_size: 272
    .language:       OpenCL C
    .language_version:
      - 2
      - 0
    .max_flat_workgroup_size: 1024
    .name:           gpu_test_kernel
    .private_segment_fixed_size: 32
    .sgpr_count:     44
    .sgpr_spill_count: 0
    .symbol:         gpu_test_kernel.kd
    .uniform_work_group_size: 1
    .uses_dynamic_stack: false
    .vgpr_count:     38
    .vgpr_spill_count: 0
    .wavefront_size: 32
    .workgroup_processor_mode: 1
amdhsa.target:   amdgcn-amd-amdhsa--gfx1030
amdhsa.version:
  - 1
  - 2
...

	.end_amdgpu_metadata
